;; amdgpu-corpus repo=ROCm/rocFFT kind=compiled arch=gfx1201 opt=O3
	.text
	.amdgcn_target "amdgcn-amd-amdhsa--gfx1201"
	.amdhsa_code_object_version 6
	.protected	fft_rtc_back_len1750_factors_2_5_5_7_5_wgs_175_tpt_175_halfLds_sp_op_CI_CI_unitstride_sbrr_R2C_dirReg ; -- Begin function fft_rtc_back_len1750_factors_2_5_5_7_5_wgs_175_tpt_175_halfLds_sp_op_CI_CI_unitstride_sbrr_R2C_dirReg
	.globl	fft_rtc_back_len1750_factors_2_5_5_7_5_wgs_175_tpt_175_halfLds_sp_op_CI_CI_unitstride_sbrr_R2C_dirReg
	.p2align	8
	.type	fft_rtc_back_len1750_factors_2_5_5_7_5_wgs_175_tpt_175_halfLds_sp_op_CI_CI_unitstride_sbrr_R2C_dirReg,@function
fft_rtc_back_len1750_factors_2_5_5_7_5_wgs_175_tpt_175_halfLds_sp_op_CI_CI_unitstride_sbrr_R2C_dirReg: ; @fft_rtc_back_len1750_factors_2_5_5_7_5_wgs_175_tpt_175_halfLds_sp_op_CI_CI_unitstride_sbrr_R2C_dirReg
; %bb.0:
	s_clause 0x2
	s_load_b128 s[8:11], s[0:1], 0x0
	s_load_b128 s[4:7], s[0:1], 0x58
	;; [unrolled: 1-line block ×3, first 2 shown]
	v_mul_u32_u24_e32 v1, 0x177, v0
	v_mov_b32_e32 v3, 0
	s_delay_alu instid0(VALU_DEP_2) | instskip(NEXT) | instid1(VALU_DEP_1)
	v_lshrrev_b32_e32 v1, 16, v1
	v_add_nc_u32_e32 v5, ttmp9, v1
	v_mov_b32_e32 v1, 0
	v_mov_b32_e32 v2, 0
	;; [unrolled: 1-line block ×3, first 2 shown]
	s_wait_kmcnt 0x0
	v_cmp_lt_u64_e64 s2, s[10:11], 2
	s_delay_alu instid0(VALU_DEP_1)
	s_and_b32 vcc_lo, exec_lo, s2
	s_cbranch_vccnz .LBB0_8
; %bb.1:
	s_load_b64 s[2:3], s[0:1], 0x10
	v_mov_b32_e32 v1, 0
	v_mov_b32_e32 v2, 0
	s_add_nc_u64 s[16:17], s[14:15], 8
	s_add_nc_u64 s[18:19], s[12:13], 8
	s_mov_b64 s[20:21], 1
	s_delay_alu instid0(VALU_DEP_1)
	v_dual_mov_b32 v21, v2 :: v_dual_mov_b32 v20, v1
	s_wait_kmcnt 0x0
	s_add_nc_u64 s[22:23], s[2:3], 8
	s_mov_b32 s3, 0
.LBB0_2:                                ; =>This Inner Loop Header: Depth=1
	s_load_b64 s[24:25], s[22:23], 0x0
                                        ; implicit-def: $vgpr24_vgpr25
	s_mov_b32 s2, exec_lo
	s_wait_kmcnt 0x0
	v_or_b32_e32 v4, s25, v6
	s_delay_alu instid0(VALU_DEP_1)
	v_cmpx_ne_u64_e32 0, v[3:4]
	s_wait_alu 0xfffe
	s_xor_b32 s26, exec_lo, s2
	s_cbranch_execz .LBB0_4
; %bb.3:                                ;   in Loop: Header=BB0_2 Depth=1
	s_cvt_f32_u32 s2, s24
	s_cvt_f32_u32 s27, s25
	s_sub_nc_u64 s[30:31], 0, s[24:25]
	s_wait_alu 0xfffe
	s_delay_alu instid0(SALU_CYCLE_1) | instskip(SKIP_1) | instid1(SALU_CYCLE_2)
	s_fmamk_f32 s2, s27, 0x4f800000, s2
	s_wait_alu 0xfffe
	v_s_rcp_f32 s2, s2
	s_delay_alu instid0(TRANS32_DEP_1) | instskip(SKIP_1) | instid1(SALU_CYCLE_2)
	s_mul_f32 s2, s2, 0x5f7ffffc
	s_wait_alu 0xfffe
	s_mul_f32 s27, s2, 0x2f800000
	s_wait_alu 0xfffe
	s_delay_alu instid0(SALU_CYCLE_2) | instskip(SKIP_1) | instid1(SALU_CYCLE_2)
	s_trunc_f32 s27, s27
	s_wait_alu 0xfffe
	s_fmamk_f32 s2, s27, 0xcf800000, s2
	s_cvt_u32_f32 s29, s27
	s_wait_alu 0xfffe
	s_delay_alu instid0(SALU_CYCLE_1) | instskip(SKIP_1) | instid1(SALU_CYCLE_2)
	s_cvt_u32_f32 s28, s2
	s_wait_alu 0xfffe
	s_mul_u64 s[34:35], s[30:31], s[28:29]
	s_wait_alu 0xfffe
	s_mul_hi_u32 s37, s28, s35
	s_mul_i32 s36, s28, s35
	s_mul_hi_u32 s2, s28, s34
	s_mul_i32 s33, s29, s34
	s_wait_alu 0xfffe
	s_add_nc_u64 s[36:37], s[2:3], s[36:37]
	s_mul_hi_u32 s27, s29, s34
	s_mul_hi_u32 s38, s29, s35
	s_add_co_u32 s2, s36, s33
	s_wait_alu 0xfffe
	s_add_co_ci_u32 s2, s37, s27
	s_mul_i32 s34, s29, s35
	s_add_co_ci_u32 s35, s38, 0
	s_wait_alu 0xfffe
	s_add_nc_u64 s[34:35], s[2:3], s[34:35]
	s_wait_alu 0xfffe
	v_add_co_u32 v4, s2, s28, s34
	s_delay_alu instid0(VALU_DEP_1) | instskip(SKIP_1) | instid1(VALU_DEP_1)
	s_cmp_lg_u32 s2, 0
	s_add_co_ci_u32 s29, s29, s35
	v_readfirstlane_b32 s28, v4
	s_wait_alu 0xfffe
	s_delay_alu instid0(VALU_DEP_1)
	s_mul_u64 s[30:31], s[30:31], s[28:29]
	s_wait_alu 0xfffe
	s_mul_hi_u32 s35, s28, s31
	s_mul_i32 s34, s28, s31
	s_mul_hi_u32 s2, s28, s30
	s_mul_i32 s33, s29, s30
	s_wait_alu 0xfffe
	s_add_nc_u64 s[34:35], s[2:3], s[34:35]
	s_mul_hi_u32 s27, s29, s30
	s_mul_hi_u32 s28, s29, s31
	s_wait_alu 0xfffe
	s_add_co_u32 s2, s34, s33
	s_add_co_ci_u32 s2, s35, s27
	s_mul_i32 s30, s29, s31
	s_add_co_ci_u32 s31, s28, 0
	s_wait_alu 0xfffe
	s_add_nc_u64 s[30:31], s[2:3], s[30:31]
	s_wait_alu 0xfffe
	v_add_co_u32 v4, s2, v4, s30
	s_delay_alu instid0(VALU_DEP_1) | instskip(SKIP_1) | instid1(VALU_DEP_1)
	s_cmp_lg_u32 s2, 0
	s_add_co_ci_u32 s2, s29, s31
	v_mul_hi_u32 v13, v5, v4
	s_wait_alu 0xfffe
	v_mad_co_u64_u32 v[7:8], null, v5, s2, 0
	v_mad_co_u64_u32 v[9:10], null, v6, v4, 0
	;; [unrolled: 1-line block ×3, first 2 shown]
	s_delay_alu instid0(VALU_DEP_3) | instskip(SKIP_1) | instid1(VALU_DEP_4)
	v_add_co_u32 v4, vcc_lo, v13, v7
	s_wait_alu 0xfffd
	v_add_co_ci_u32_e32 v7, vcc_lo, 0, v8, vcc_lo
	s_delay_alu instid0(VALU_DEP_2) | instskip(SKIP_1) | instid1(VALU_DEP_2)
	v_add_co_u32 v4, vcc_lo, v4, v9
	s_wait_alu 0xfffd
	v_add_co_ci_u32_e32 v4, vcc_lo, v7, v10, vcc_lo
	s_wait_alu 0xfffd
	v_add_co_ci_u32_e32 v7, vcc_lo, 0, v12, vcc_lo
	s_delay_alu instid0(VALU_DEP_2) | instskip(SKIP_1) | instid1(VALU_DEP_2)
	v_add_co_u32 v4, vcc_lo, v4, v11
	s_wait_alu 0xfffd
	v_add_co_ci_u32_e32 v9, vcc_lo, 0, v7, vcc_lo
	s_delay_alu instid0(VALU_DEP_2) | instskip(SKIP_1) | instid1(VALU_DEP_3)
	v_mul_lo_u32 v10, s25, v4
	v_mad_co_u64_u32 v[7:8], null, s24, v4, 0
	v_mul_lo_u32 v11, s24, v9
	s_delay_alu instid0(VALU_DEP_2) | instskip(NEXT) | instid1(VALU_DEP_2)
	v_sub_co_u32 v7, vcc_lo, v5, v7
	v_add3_u32 v8, v8, v11, v10
	s_delay_alu instid0(VALU_DEP_1) | instskip(SKIP_1) | instid1(VALU_DEP_1)
	v_sub_nc_u32_e32 v10, v6, v8
	s_wait_alu 0xfffd
	v_subrev_co_ci_u32_e64 v10, s2, s25, v10, vcc_lo
	v_add_co_u32 v11, s2, v4, 2
	s_wait_alu 0xf1ff
	v_add_co_ci_u32_e64 v12, s2, 0, v9, s2
	v_sub_co_u32 v13, s2, v7, s24
	v_sub_co_ci_u32_e32 v8, vcc_lo, v6, v8, vcc_lo
	s_wait_alu 0xf1ff
	v_subrev_co_ci_u32_e64 v10, s2, 0, v10, s2
	s_delay_alu instid0(VALU_DEP_3) | instskip(NEXT) | instid1(VALU_DEP_3)
	v_cmp_le_u32_e32 vcc_lo, s24, v13
	v_cmp_eq_u32_e64 s2, s25, v8
	s_wait_alu 0xfffd
	v_cndmask_b32_e64 v13, 0, -1, vcc_lo
	v_cmp_le_u32_e32 vcc_lo, s25, v10
	s_wait_alu 0xfffd
	v_cndmask_b32_e64 v14, 0, -1, vcc_lo
	v_cmp_le_u32_e32 vcc_lo, s24, v7
	;; [unrolled: 3-line block ×3, first 2 shown]
	s_wait_alu 0xfffd
	v_cndmask_b32_e64 v15, 0, -1, vcc_lo
	v_cmp_eq_u32_e32 vcc_lo, s25, v10
	s_wait_alu 0xf1ff
	s_delay_alu instid0(VALU_DEP_2)
	v_cndmask_b32_e64 v7, v15, v7, s2
	s_wait_alu 0xfffd
	v_cndmask_b32_e32 v10, v14, v13, vcc_lo
	v_add_co_u32 v13, vcc_lo, v4, 1
	s_wait_alu 0xfffd
	v_add_co_ci_u32_e32 v14, vcc_lo, 0, v9, vcc_lo
	s_delay_alu instid0(VALU_DEP_3) | instskip(SKIP_1) | instid1(VALU_DEP_2)
	v_cmp_ne_u32_e32 vcc_lo, 0, v10
	s_wait_alu 0xfffd
	v_cndmask_b32_e32 v8, v14, v12, vcc_lo
	v_cndmask_b32_e32 v10, v13, v11, vcc_lo
	v_cmp_ne_u32_e32 vcc_lo, 0, v7
	s_wait_alu 0xfffd
	s_delay_alu instid0(VALU_DEP_2)
	v_dual_cndmask_b32 v25, v9, v8 :: v_dual_cndmask_b32 v24, v4, v10
.LBB0_4:                                ;   in Loop: Header=BB0_2 Depth=1
	s_wait_alu 0xfffe
	s_and_not1_saveexec_b32 s2, s26
	s_cbranch_execz .LBB0_6
; %bb.5:                                ;   in Loop: Header=BB0_2 Depth=1
	v_cvt_f32_u32_e32 v4, s24
	s_sub_co_i32 s26, 0, s24
	v_mov_b32_e32 v25, v3
	s_delay_alu instid0(VALU_DEP_2) | instskip(NEXT) | instid1(TRANS32_DEP_1)
	v_rcp_iflag_f32_e32 v4, v4
	v_mul_f32_e32 v4, 0x4f7ffffe, v4
	s_delay_alu instid0(VALU_DEP_1) | instskip(SKIP_1) | instid1(VALU_DEP_1)
	v_cvt_u32_f32_e32 v4, v4
	s_wait_alu 0xfffe
	v_mul_lo_u32 v7, s26, v4
	s_delay_alu instid0(VALU_DEP_1) | instskip(NEXT) | instid1(VALU_DEP_1)
	v_mul_hi_u32 v7, v4, v7
	v_add_nc_u32_e32 v4, v4, v7
	s_delay_alu instid0(VALU_DEP_1) | instskip(NEXT) | instid1(VALU_DEP_1)
	v_mul_hi_u32 v4, v5, v4
	v_mul_lo_u32 v7, v4, s24
	v_add_nc_u32_e32 v8, 1, v4
	s_delay_alu instid0(VALU_DEP_2) | instskip(NEXT) | instid1(VALU_DEP_1)
	v_sub_nc_u32_e32 v7, v5, v7
	v_subrev_nc_u32_e32 v9, s24, v7
	v_cmp_le_u32_e32 vcc_lo, s24, v7
	s_wait_alu 0xfffd
	s_delay_alu instid0(VALU_DEP_2) | instskip(NEXT) | instid1(VALU_DEP_1)
	v_dual_cndmask_b32 v7, v7, v9 :: v_dual_cndmask_b32 v4, v4, v8
	v_cmp_le_u32_e32 vcc_lo, s24, v7
	s_delay_alu instid0(VALU_DEP_2) | instskip(SKIP_1) | instid1(VALU_DEP_1)
	v_add_nc_u32_e32 v8, 1, v4
	s_wait_alu 0xfffd
	v_cndmask_b32_e32 v24, v4, v8, vcc_lo
.LBB0_6:                                ;   in Loop: Header=BB0_2 Depth=1
	s_wait_alu 0xfffe
	s_or_b32 exec_lo, exec_lo, s2
	v_mul_lo_u32 v4, v25, s24
	s_delay_alu instid0(VALU_DEP_2)
	v_mul_lo_u32 v9, v24, s25
	s_load_b64 s[26:27], s[18:19], 0x0
	v_mad_co_u64_u32 v[7:8], null, v24, s24, 0
	s_load_b64 s[24:25], s[16:17], 0x0
	s_add_nc_u64 s[20:21], s[20:21], 1
	s_add_nc_u64 s[16:17], s[16:17], 8
	s_wait_alu 0xfffe
	v_cmp_ge_u64_e64 s2, s[20:21], s[10:11]
	s_add_nc_u64 s[18:19], s[18:19], 8
	s_add_nc_u64 s[22:23], s[22:23], 8
	v_add3_u32 v4, v8, v9, v4
	v_sub_co_u32 v5, vcc_lo, v5, v7
	s_wait_alu 0xfffd
	s_delay_alu instid0(VALU_DEP_2) | instskip(SKIP_2) | instid1(VALU_DEP_1)
	v_sub_co_ci_u32_e32 v4, vcc_lo, v6, v4, vcc_lo
	s_and_b32 vcc_lo, exec_lo, s2
	s_wait_kmcnt 0x0
	v_mul_lo_u32 v6, s26, v4
	v_mul_lo_u32 v7, s27, v5
	v_mad_co_u64_u32 v[1:2], null, s26, v5, v[1:2]
	v_mul_lo_u32 v4, s24, v4
	v_mul_lo_u32 v8, s25, v5
	v_mad_co_u64_u32 v[20:21], null, s24, v5, v[20:21]
	s_delay_alu instid0(VALU_DEP_4) | instskip(NEXT) | instid1(VALU_DEP_2)
	v_add3_u32 v2, v7, v2, v6
	v_add3_u32 v21, v8, v21, v4
	s_wait_alu 0xfffe
	s_cbranch_vccnz .LBB0_9
; %bb.7:                                ;   in Loop: Header=BB0_2 Depth=1
	v_dual_mov_b32 v5, v24 :: v_dual_mov_b32 v6, v25
	s_branch .LBB0_2
.LBB0_8:
	v_dual_mov_b32 v21, v2 :: v_dual_mov_b32 v20, v1
	v_dual_mov_b32 v25, v6 :: v_dual_mov_b32 v24, v5
.LBB0_9:
	s_load_b64 s[0:1], s[0:1], 0x28
	v_mul_hi_u32 v3, 0x1767dcf, v0
	s_lshl_b64 s[10:11], s[10:11], 3
                                        ; implicit-def: $vgpr22
                                        ; implicit-def: $vgpr26
                                        ; implicit-def: $vgpr29
                                        ; implicit-def: $vgpr28
	s_wait_kmcnt 0x0
	v_cmp_gt_u64_e32 vcc_lo, s[0:1], v[24:25]
	v_cmp_le_u64_e64 s0, s[0:1], v[24:25]
	s_delay_alu instid0(VALU_DEP_1)
	s_and_saveexec_b32 s1, s0
	s_wait_alu 0xfffe
	s_xor_b32 s0, exec_lo, s1
; %bb.10:
	v_mul_u32_u24_e32 v1, 0xaf, v3
                                        ; implicit-def: $vgpr3
	s_delay_alu instid0(VALU_DEP_1) | instskip(NEXT) | instid1(VALU_DEP_1)
	v_sub_nc_u32_e32 v22, v0, v1
                                        ; implicit-def: $vgpr0
                                        ; implicit-def: $vgpr1_vgpr2
	v_add_nc_u32_e32 v26, 0xaf, v22
	v_add_nc_u32_e32 v29, 0x15e, v22
	;; [unrolled: 1-line block ×3, first 2 shown]
; %bb.11:
	s_wait_alu 0xfffe
	s_or_saveexec_b32 s1, s0
	s_add_nc_u64 s[2:3], s[14:15], s[10:11]
	s_wait_alu 0xfffe
	s_xor_b32 exec_lo, exec_lo, s1
	s_cbranch_execz .LBB0_13
; %bb.12:
	s_add_nc_u64 s[10:11], s[12:13], s[10:11]
	v_lshlrev_b64_e32 v[1:2], 3, v[1:2]
	s_load_b64 s[10:11], s[10:11], 0x0
	s_wait_kmcnt 0x0
	v_mul_lo_u32 v6, s11, v24
	v_mul_lo_u32 v7, s10, v25
	v_mad_co_u64_u32 v[4:5], null, s10, v24, 0
	s_delay_alu instid0(VALU_DEP_1) | instskip(SKIP_1) | instid1(VALU_DEP_2)
	v_add3_u32 v5, v5, v7, v6
	v_mul_u32_u24_e32 v6, 0xaf, v3
	v_lshlrev_b64_e32 v[3:4], 3, v[4:5]
	s_delay_alu instid0(VALU_DEP_2) | instskip(NEXT) | instid1(VALU_DEP_1)
	v_sub_nc_u32_e32 v22, v0, v6
	v_lshlrev_b32_e32 v23, 3, v22
	s_delay_alu instid0(VALU_DEP_3) | instskip(SKIP_1) | instid1(VALU_DEP_4)
	v_add_co_u32 v0, s0, s4, v3
	s_wait_alu 0xf1ff
	v_add_co_ci_u32_e64 v3, s0, s5, v4, s0
	v_add_nc_u32_e32 v26, 0xaf, v22
	s_delay_alu instid0(VALU_DEP_3) | instskip(SKIP_1) | instid1(VALU_DEP_3)
	v_add_co_u32 v0, s0, v0, v1
	s_wait_alu 0xf1ff
	v_add_co_ci_u32_e64 v1, s0, v3, v2, s0
	v_add_nc_u32_e32 v29, 0x15e, v22
	s_delay_alu instid0(VALU_DEP_3) | instskip(SKIP_1) | instid1(VALU_DEP_3)
	v_add_co_u32 v0, s0, v0, v23
	s_wait_alu 0xf1ff
	v_add_co_ci_u32_e64 v1, s0, 0, v1, s0
	s_clause 0x9
	global_load_b64 v[2:3], v[0:1], off
	global_load_b64 v[4:5], v[0:1], off offset:1400
	global_load_b64 v[6:7], v[0:1], off offset:2800
	;; [unrolled: 1-line block ×9, first 2 shown]
	v_add_nc_u32_e32 v23, 0, v23
	v_add_nc_u32_e32 v28, 0x2bc, v22
	s_delay_alu instid0(VALU_DEP_2)
	v_add_nc_u32_e32 v27, 0xa00, v23
	v_add_nc_u32_e32 v30, 0x1400, v23
	;; [unrolled: 1-line block ×4, first 2 shown]
	s_wait_loadcnt 0x8
	ds_store_2addr_b64 v23, v[2:3], v[4:5] offset1:175
	s_wait_loadcnt 0x6
	ds_store_2addr_b64 v27, v[6:7], v[8:9] offset0:30 offset1:205
	s_wait_loadcnt 0x4
	ds_store_2addr_b64 v30, v[10:11], v[12:13] offset0:60 offset1:235
	;; [unrolled: 2-line block ×4, first 2 shown]
.LBB0_13:
	s_or_b32 exec_lo, exec_lo, s1
	v_lshlrev_b32_e32 v23, 3, v22
	s_load_b64 s[2:3], s[2:3], 0x0
	global_wb scope:SCOPE_SE
	s_wait_dscnt 0x0
	s_wait_kmcnt 0x0
	s_barrier_signal -1
	s_barrier_wait -1
	v_add_nc_u32_e32 v38, 0, v23
	global_inv scope:SCOPE_SE
	v_lshl_add_u32 v27, v29, 4, 0
	v_lshl_add_u32 v39, v28, 4, 0
	v_cmp_gt_u32_e64 s0, 0x4b, v22
	ds_load_2addr_b64 v[2:5], v38 offset1:175
	v_add_nc_u32_e32 v0, 0x1400, v38
	v_lshlrev_b32_e32 v41, 3, v29
	ds_load_2addr_b64 v[6:9], v0 offset0:60 offset1:235
	v_sub_nc_u32_e32 v40, v27, v41
	s_wait_dscnt 0x0
	v_sub_f32_e32 v9, v3, v9
	v_add_nc_u32_e32 v1, 0x2000, v38
	v_add_nc_u32_e32 v14, 0xa00, v38
	;; [unrolled: 1-line block ×3, first 2 shown]
	ds_load_2addr_b64 v[10:13], v1 offset0:26 offset1:201
	ds_load_2addr_b64 v[14:17], v14 offset0:30 offset1:205
	ds_load_2addr_b64 v[30:33], v18 offset0:56 offset1:231
	v_sub_f32_e32 v8, v2, v8
	v_add_nc_u32_e32 v34, v38, v23
	v_fma_f32 v3, v3, 2.0, -v9
	v_lshl_add_u32 v1, v26, 4, 0
	global_wb scope:SCOPE_SE
	s_wait_dscnt 0x0
	v_fma_f32 v2, v2, 2.0, -v8
	s_barrier_signal -1
	s_barrier_wait -1
	global_inv scope:SCOPE_SE
	v_dual_sub_f32 v10, v4, v10 :: v_dual_sub_f32 v11, v5, v11
	v_dual_sub_f32 v12, v14, v12 :: v_dual_sub_f32 v13, v15, v13
	;; [unrolled: 1-line block ×4, first 2 shown]
	v_add_nc_u32_e32 v35, 0x20d0, v34
	v_and_b32_e32 v32, 1, v22
	v_fma_f32 v4, v4, 2.0, -v10
	v_fma_f32 v5, v5, 2.0, -v11
	;; [unrolled: 1-line block ×4, first 2 shown]
	ds_store_2addr_b64 v34, v[2:3], v[8:9] offset1:1
	ds_store_2addr_b64 v1, v[4:5], v[10:11] offset1:1
	v_lshlrev_b32_e32 v2, 5, v32
	v_fma_f32 v16, v16, 2.0, -v18
	v_fma_f32 v17, v17, 2.0, -v19
	;; [unrolled: 1-line block ×4, first 2 shown]
	ds_store_2addr_b64 v27, v[14:15], v[12:13] offset1:1
	ds_store_2addr_b64 v35, v[16:17], v[18:19] offset1:1
	;; [unrolled: 1-line block ×3, first 2 shown]
	global_wb scope:SCOPE_SE
	s_wait_dscnt 0x0
	s_barrier_signal -1
	s_barrier_wait -1
	global_inv scope:SCOPE_SE
	global_load_b128 v[3:6], v2, s[8:9]
	v_and_b32_e32 v19, 1, v26
	v_lshrrev_b32_e32 v33, 1, v22
	v_lshrrev_b32_e32 v34, 1, v26
	s_delay_alu instid0(VALU_DEP_3)
	v_lshlrev_b32_e32 v15, 5, v19
	s_clause 0x2
	global_load_b128 v[7:10], v2, s[8:9] offset:16
	global_load_b128 v[11:14], v15, s[8:9]
	global_load_b128 v[15:18], v15, s[8:9] offset:16
	v_lshlrev_b32_e32 v42, 3, v28
	ds_load_b64 v[44:45], v40
	v_and_b32_e32 v30, 0xffff, v26
	v_add_nc_u32_e32 v59, 0x1a00, v38
	v_sub_nc_u32_e32 v57, v39, v42
	s_delay_alu instid0(VALU_DEP_3)
	v_mul_u32_u24_e32 v30, 0xcccd, v30
	ds_load_b64 v[46:47], v57
	v_and_b32_e32 v43, 0xff, v22
	v_lshrrev_b32_e32 v58, 19, v30
	s_wait_loadcnt_dscnt 0x301
	v_mul_f32_e32 v66, v4, v45
	v_mul_f32_e32 v4, v4, v44
	v_mul_lo_u16 v31, 0xcd, v43
	s_wait_dscnt 0x0
	v_mul_f32_e32 v67, v6, v47
	v_mul_f32_e32 v6, v6, v46
	s_delay_alu instid0(VALU_DEP_3) | instskip(SKIP_3) | instid1(VALU_DEP_4)
	v_lshrrev_b16 v56, 11, v31
	v_mul_u32_u24_e32 v31, 10, v33
	v_mul_lo_u32 v33, v34, 10
	v_fmac_f32_e32 v67, v5, v46
	v_mul_lo_u16 v30, v56, 10
	s_delay_alu instid0(VALU_DEP_4) | instskip(SKIP_1) | instid1(VALU_DEP_3)
	v_or_b32_e32 v52, v31, v32
	v_mul_lo_u16 v31, v58, 10
	v_sub_nc_u16 v34, v22, v30
	v_or_b32_e32 v19, v33, v19
	s_delay_alu instid0(VALU_DEP_3)
	v_sub_nc_u16 v53, v26, v31
	ds_load_2addr_b64 v[30:33], v59 offset0:43 offset1:218
	v_lshl_add_u32 v63, v52, 3, 0
	v_and_b32_e32 v61, 0xff, v34
	v_lshl_add_u32 v19, v19, 3, 0
	s_wait_loadcnt_dscnt 0x100
	v_dual_mul_f32 v71, v31, v14 :: v_dual_and_b32 v64, 0xffff, v53
	v_add_nc_u32_e32 v60, 0x2400, v38
	v_mul_f32_e32 v68, v8, v33
	v_dual_mul_f32 v8, v8, v32 :: v_dual_lshlrev_b32 v65, 5, v61
	s_delay_alu instid0(VALU_DEP_4)
	v_fmac_f32_e32 v71, v30, v13
	ds_load_2addr_b64 v[34:37], v60 offset0:73 offset1:248
	ds_load_b64 v[48:49], v38
	ds_load_b64 v[50:51], v38 offset:4200
	v_fma_f32 v8, v7, v33, -v8
	s_wait_dscnt 0x2
	v_dual_mul_f32 v69, v10, v37 :: v_dual_lshlrev_b32 v2, 3, v26
	v_mul_f32_e32 v10, v10, v36
	s_delay_alu instid0(VALU_DEP_2) | instskip(NEXT) | instid1(VALU_DEP_3)
	v_fmac_f32_e32 v69, v9, v36
	v_sub_nc_u32_e32 v62, v1, v2
	ds_load_b64 v[52:53], v38 offset:12600
	ds_load_b64 v[54:55], v62
	global_wb scope:SCOPE_SE
	s_wait_loadcnt_dscnt 0x0
	s_barrier_signal -1
	s_barrier_wait -1
	global_inv scope:SCOPE_SE
	v_sub_nc_u32_e32 v2, 0, v2
	v_mul_f32_e32 v73, v53, v18
	s_delay_alu instid0(VALU_DEP_1) | instskip(SKIP_3) | instid1(VALU_DEP_4)
	v_dual_fmac_f32 v73, v52, v17 :: v_dual_fmac_f32 v66, v3, v44
	v_mul_f32_e32 v72, v35, v16
	v_fma_f32 v3, v3, v45, -v4
	v_fma_f32 v4, v5, v47, -v6
	v_dual_fmac_f32 v68, v7, v32 :: v_dual_add_f32 v7, v48, v66
	s_delay_alu instid0(VALU_DEP_4) | instskip(SKIP_2) | instid1(VALU_DEP_4)
	v_fmac_f32_e32 v72, v34, v15
	v_mul_f32_e32 v14, v30, v14
	v_fma_f32 v32, v9, v37, -v10
	v_add_f32_e32 v7, v7, v67
	s_delay_alu instid0(VALU_DEP_4) | instskip(SKIP_4) | instid1(VALU_DEP_4)
	v_sub_f32_e32 v75, v72, v73
	v_dual_mul_f32 v18, v52, v18 :: v_dual_sub_f32 v33, v66, v69
	v_dual_mul_f32 v70, v12, v51 :: v_dual_add_f32 v9, v67, v68
	v_mul_f32_e32 v12, v12, v50
	v_mul_f32_e32 v16, v34, v16
	v_fma_f32 v18, v53, v17, -v18
	s_delay_alu instid0(VALU_DEP_4) | instskip(NEXT) | instid1(VALU_DEP_4)
	v_dual_fmac_f32 v70, v11, v50 :: v_dual_sub_f32 v17, v4, v8
	v_fma_f32 v5, v11, v51, -v12
	v_fma_f32 v6, v31, v13, -v14
	v_add_f32_e32 v31, v4, v8
	v_fma_f32 v12, v35, v15, -v16
	v_dual_sub_f32 v10, v66, v67 :: v_dual_add_f32 v37, v3, v32
	v_dual_sub_f32 v11, v69, v68 :: v_dual_sub_f32 v14, v67, v66
	v_sub_f32_e32 v45, v8, v32
	v_dual_sub_f32 v35, v3, v4 :: v_dual_add_f32 v30, v49, v3
	v_dual_add_f32 v47, v71, v72 :: v_dual_sub_f32 v44, v4, v3
	v_sub_f32_e32 v51, v6, v12
	v_add_f32_e32 v13, v66, v69
	v_dual_sub_f32 v15, v68, v69 :: v_dual_add_f32 v46, v54, v70
	v_sub_f32_e32 v53, v73, v72
	v_dual_sub_f32 v50, v5, v18 :: v_dual_add_f32 v77, v6, v12
	v_add_f32_e32 v76, v55, v5
	v_dual_sub_f32 v16, v3, v32 :: v_dual_sub_f32 v79, v5, v6
	v_dual_sub_f32 v34, v67, v68 :: v_dual_add_f32 v81, v5, v18
	v_sub_f32_e32 v36, v32, v8
	v_dual_sub_f32 v74, v71, v70 :: v_dual_add_f32 v67, v10, v11
	v_sub_f32_e32 v80, v18, v12
	v_add_f32_e32 v10, v30, v4
	v_fma_f32 v4, -0.5, v31, v49
	v_add_f32_e32 v31, v44, v45
	v_add_f32_e32 v66, v70, v73
	v_dual_sub_f32 v52, v70, v71 :: v_dual_sub_f32 v83, v12, v18
	v_dual_sub_f32 v78, v71, v72 :: v_dual_fmac_f32 v49, -0.5, v37
	v_fma_f32 v3, -0.5, v9, v48
	v_sub_f32_e32 v82, v6, v5
	v_fma_f32 v48, -0.5, v13, v48
	v_sub_f32_e32 v70, v70, v73
	v_add_f32_e32 v84, v14, v15
	v_add_f32_e32 v11, v46, v71
	v_fma_f32 v5, -0.5, v47, v54
	v_add_f32_e32 v14, v76, v6
	v_fma_f32 v6, -0.5, v77, v55
	;; [unrolled: 2-line block ×3, first 2 shown]
	v_fmac_f32_e32 v55, -0.5, v81
	v_add_f32_e32 v45, v10, v8
	v_dual_add_f32 v30, v35, v36 :: v_dual_fmamk_f32 v9, v17, 0x3f737871, v48
	v_dual_add_f32 v36, v74, v75 :: v_dual_add_f32 v15, v7, v68
	v_fmamk_f32 v7, v16, 0xbf737871, v3
	v_dual_fmac_f32 v3, 0x3f737871, v16 :: v_dual_add_f32 v44, v82, v83
	v_fmamk_f32 v8, v33, 0x3f737871, v4
	s_delay_alu instid0(VALU_DEP_4)
	v_dual_fmamk_f32 v10, v34, 0xbf737871, v49 :: v_dual_add_f32 v15, v15, v69
	v_fmac_f32_e32 v49, 0x3f737871, v34
	v_fmac_f32_e32 v48, 0xbf737871, v17
	v_dual_fmac_f32 v4, 0xbf737871, v33 :: v_dual_add_f32 v47, v14, v12
	v_dual_add_f32 v46, v11, v72 :: v_dual_fmamk_f32 v11, v50, 0xbf737871, v5
	v_fmamk_f32 v12, v70, 0x3f737871, v6
	v_fmamk_f32 v13, v51, 0x3f737871, v54
	;; [unrolled: 1-line block ×3, first 2 shown]
	v_fmac_f32_e32 v55, 0x3f737871, v78
	v_fmac_f32_e32 v54, 0xbf737871, v51
	v_fmac_f32_e32 v5, 0x3f737871, v50
	v_fmac_f32_e32 v6, 0xbf737871, v70
	v_dual_fmac_f32 v7, 0xbf167918, v17 :: v_dual_fmac_f32 v4, 0xbf167918, v34
	v_dual_fmac_f32 v3, 0x3f167918, v17 :: v_dual_fmac_f32 v48, 0x3f167918, v16
	s_delay_alu instid0(VALU_DEP_4)
	v_dual_fmac_f32 v8, 0x3f167918, v34 :: v_dual_fmac_f32 v5, 0x3f167918, v51
	v_fmac_f32_e32 v10, 0x3f167918, v33
	v_fmac_f32_e32 v49, 0xbf167918, v33
	v_dual_fmac_f32 v9, 0xbf167918, v16 :: v_dual_add_f32 v18, v47, v18
	v_add_f32_e32 v35, v52, v53
	v_fmac_f32_e32 v11, 0xbf167918, v51
	v_fmac_f32_e32 v12, 0x3f167918, v78
	v_dual_add_f32 v16, v45, v32 :: v_dual_add_f32 v17, v46, v73
	v_fmac_f32_e32 v13, 0xbf167918, v50
	v_fmac_f32_e32 v54, 0x3f167918, v50
	;; [unrolled: 1-line block ×4, first 2 shown]
	v_dual_fmac_f32 v7, 0x3e9e377a, v67 :: v_dual_fmac_f32 v48, 0x3e9e377a, v84
	v_dual_fmac_f32 v3, 0x3e9e377a, v67 :: v_dual_fmac_f32 v8, 0x3e9e377a, v30
	;; [unrolled: 1-line block ×4, first 2 shown]
	v_dual_fmac_f32 v6, 0xbf167918, v78 :: v_dual_lshlrev_b32 v31, 3, v61
	v_dual_fmac_f32 v9, 0x3e9e377a, v84 :: v_dual_fmac_f32 v4, 0x3e9e377a, v30
	v_dual_fmac_f32 v11, 0x3e9e377a, v35 :: v_dual_fmac_f32 v12, 0x3e9e377a, v37
	v_fmac_f32_e32 v14, 0x3e9e377a, v44
	v_fmac_f32_e32 v55, 0x3e9e377a, v44
	v_dual_fmac_f32 v5, 0x3e9e377a, v35 :: v_dual_fmac_f32 v6, 0x3e9e377a, v37
	ds_store_2addr_b64 v63, v[15:16], v[7:8] offset1:2
	ds_store_2addr_b64 v63, v[9:10], v[48:49] offset0:4 offset1:6
	ds_store_b64 v63, v[3:4] offset:64
	ds_store_2addr_b64 v19, v[17:18], v[11:12] offset1:2
	ds_store_2addr_b64 v19, v[13:14], v[54:55] offset0:4 offset1:6
	ds_store_b64 v19, v[5:6] offset:64
	v_lshlrev_b32_e32 v15, 5, v64
	global_wb scope:SCOPE_SE
	s_wait_dscnt 0x0
	s_barrier_signal -1
	s_barrier_wait -1
	global_inv scope:SCOPE_SE
	s_clause 0x3
	global_load_b128 v[3:6], v65, s[8:9] offset:64
	global_load_b128 v[7:10], v65, s[8:9] offset:80
	;; [unrolled: 1-line block ×4, first 2 shown]
	ds_load_2addr_b64 v[32:35], v59 offset0:43 offset1:218
	ds_load_b64 v[36:37], v40
	ds_load_b64 v[48:49], v57
	ds_load_2addr_b64 v[44:47], v60 offset0:73 offset1:248
	v_and_b32_e32 v19, 0xffff, v56
	v_mul_u32_u24_e32 v30, 0x190, v58
	v_lshlrev_b32_e32 v40, 3, v64
	ds_load_b64 v[50:51], v38 offset:4200
	ds_load_b64 v[52:53], v38
	v_add_nc_u32_e32 v57, 0x1f40, v38
	v_add3_u32 v40, 0, v30, v40
	s_wait_loadcnt_dscnt 0x205
	v_mul_f32_e32 v60, v8, v35
	v_mul_f32_e32 v8, v8, v34
	v_mul_u32_u24_e32 v19, 0x190, v19
	s_wait_dscnt 0x4
	v_mul_f32_e32 v58, v4, v37
	s_wait_dscnt 0x3
	v_dual_mul_f32 v4, v4, v36 :: v_dual_mul_f32 v59, v6, v49
	v_mul_f32_e32 v6, v6, v48
	v_add3_u32 v19, 0, v19, v31
	ds_load_b64 v[54:55], v38 offset:12600
	ds_load_b64 v[30:31], v62
	s_wait_dscnt 0x4
	v_mul_f32_e32 v61, v10, v47
	s_wait_loadcnt 0x1
	v_dual_mul_f32 v63, v33, v14 :: v_dual_fmac_f32 v58, v3, v36
	v_fma_f32 v3, v3, v37, -v4
	v_fmac_f32_e32 v59, v5, v48
	v_fma_f32 v4, v5, v49, -v6
	v_fma_f32 v6, v7, v35, -v8
	s_wait_loadcnt 0x0
	v_mul_f32_e32 v64, v45, v16
	v_dual_mul_f32 v16, v44, v16 :: v_dual_fmac_f32 v61, v9, v46
	v_fmac_f32_e32 v60, v7, v34
	v_mul_f32_e32 v10, v10, v46
	v_mul_f32_e32 v14, v32, v14
	v_dual_fmac_f32 v63, v32, v13 :: v_dual_add_nc_u32 v56, 0xf80, v38
	global_wb scope:SCOPE_SE
	s_wait_dscnt 0x0
	v_fma_f32 v36, v9, v47, -v10
	v_fma_f32 v10, v45, v15, -v16
	v_dual_mul_f32 v65, v55, v18 :: v_dual_mul_f32 v62, v12, v51
	v_dual_fmac_f32 v64, v44, v15 :: v_dual_sub_f32 v15, v61, v60
	v_fma_f32 v7, v33, v13, -v14
	v_add_f32_e32 v33, v4, v6
	v_mul_f32_e32 v12, v12, v50
	v_dual_mul_f32 v18, v54, v18 :: v_dual_add_f32 v45, v3, v36
	v_sub_f32_e32 v37, v58, v61
	v_add_f32_e32 v9, v59, v60
	s_delay_alu instid0(VALU_DEP_4)
	v_fma_f32 v5, v11, v51, -v12
	v_sub_f32_e32 v51, v7, v10
	v_dual_add_f32 v8, v52, v58 :: v_dual_add_f32 v49, v63, v64
	v_dual_fmac_f32 v65, v54, v17 :: v_dual_fmac_f32 v62, v11, v50
	v_sub_f32_e32 v47, v6, v36
	v_fma_f32 v14, v55, v17, -v18
	v_dual_sub_f32 v12, v3, v36 :: v_dual_sub_f32 v35, v36, v6
	s_delay_alu instid0(VALU_DEP_4)
	v_dual_add_f32 v16, v58, v61 :: v_dual_sub_f32 v55, v65, v64
	v_dual_sub_f32 v17, v59, v58 :: v_dual_sub_f32 v18, v60, v61
	v_dual_add_f32 v69, v7, v10 :: v_dual_add_f32 v32, v53, v3
	v_dual_sub_f32 v67, v64, v65 :: v_dual_sub_f32 v34, v3, v4
	v_dual_add_f32 v73, v5, v14 :: v_dual_sub_f32 v46, v4, v3
	v_fma_f32 v3, -0.5, v9, v52
	v_add_f32_e32 v8, v8, v59
	v_sub_f32_e32 v54, v62, v63
	v_dual_add_f32 v68, v31, v5 :: v_dual_sub_f32 v11, v58, v59
	v_add_f32_e32 v48, v30, v62
	v_dual_add_f32 v58, v62, v65 :: v_dual_sub_f32 v13, v4, v6
	v_dual_sub_f32 v44, v59, v60 :: v_dual_sub_f32 v71, v5, v7
	v_dual_sub_f32 v50, v5, v14 :: v_dual_add_f32 v9, v32, v4
	v_sub_f32_e32 v66, v63, v62
	v_dual_sub_f32 v72, v14, v10 :: v_dual_sub_f32 v5, v7, v5
	v_fma_f32 v52, -0.5, v16, v52
	v_add_f32_e32 v16, v17, v18
	v_fma_f32 v4, -0.5, v33, v53
	v_add_f32_e32 v17, v34, v35
	v_fma_f32 v34, -0.5, v49, v30
	v_dual_add_f32 v49, v8, v60 :: v_dual_sub_f32 v74, v10, v14
	v_fmac_f32_e32 v53, -0.5, v45
	v_add_f32_e32 v45, v54, v55
	v_dual_sub_f32 v62, v62, v65 :: v_dual_add_f32 v33, v68, v7
	v_fma_f32 v35, -0.5, v69, v31
	v_dual_sub_f32 v70, v63, v64 :: v_dual_fmac_f32 v31, -0.5, v73
	v_add_f32_e32 v15, v11, v15
	v_add_f32_e32 v11, v48, v63
	v_fma_f32 v30, -0.5, v58, v30
	v_dual_add_f32 v18, v46, v47 :: v_dual_fmamk_f32 v7, v13, 0x3f737871, v52
	v_dual_add_f32 v47, v71, v72 :: v_dual_add_f32 v48, v5, v74
	s_delay_alu instid0(VALU_DEP_4)
	v_add_f32_e32 v55, v11, v64
	v_dual_fmamk_f32 v5, v12, 0xbf737871, v3 :: v_dual_add_f32 v54, v9, v6
	v_fmamk_f32 v9, v50, 0xbf737871, v34
	v_fmamk_f32 v6, v37, 0x3f737871, v4
	v_dual_add_f32 v46, v66, v67 :: v_dual_fmac_f32 v3, 0x3f737871, v12
	v_fmac_f32_e32 v52, 0xbf737871, v13
	v_fmac_f32_e32 v4, 0xbf737871, v37
	v_dual_fmamk_f32 v8, v44, 0xbf737871, v53 :: v_dual_add_f32 v11, v49, v61
	v_dual_fmac_f32 v53, 0x3f737871, v44 :: v_dual_add_f32 v58, v33, v10
	v_fmac_f32_e32 v5, 0xbf167918, v13
	v_fmamk_f32 v10, v62, 0x3f737871, v35
	v_fmamk_f32 v32, v51, 0x3f737871, v30
	v_dual_fmac_f32 v30, 0xbf737871, v51 :: v_dual_fmamk_f32 v33, v70, 0xbf737871, v31
	v_fmac_f32_e32 v31, 0x3f737871, v70
	v_fmac_f32_e32 v34, 0x3f737871, v50
	;; [unrolled: 1-line block ×3, first 2 shown]
	v_dual_fmac_f32 v7, 0xbf167918, v12 :: v_dual_fmac_f32 v32, 0xbf167918, v50
	v_dual_fmac_f32 v6, 0x3f167918, v44 :: v_dual_fmac_f32 v33, 0x3f167918, v62
	;; [unrolled: 1-line block ×3, first 2 shown]
	v_dual_add_f32 v12, v54, v36 :: v_dual_fmac_f32 v53, 0xbf167918, v37
	v_dual_fmac_f32 v4, 0xbf167918, v44 :: v_dual_fmac_f32 v9, 0xbf167918, v51
	v_fmac_f32_e32 v8, 0x3f167918, v37
	v_fmac_f32_e32 v10, 0x3f167918, v70
	;; [unrolled: 1-line block ×4, first 2 shown]
	v_dual_add_f32 v13, v55, v65 :: v_dual_fmac_f32 v34, 0x3f167918, v51
	v_dual_add_f32 v14, v58, v14 :: v_dual_fmac_f32 v5, 0x3e9e377a, v15
	v_fmac_f32_e32 v35, 0xbf167918, v70
	v_dual_fmac_f32 v7, 0x3e9e377a, v16 :: v_dual_fmac_f32 v6, 0x3e9e377a, v17
	v_dual_fmac_f32 v3, 0x3e9e377a, v15 :: v_dual_fmac_f32 v52, 0x3e9e377a, v16
	;; [unrolled: 1-line block ×4, first 2 shown]
	v_fmac_f32_e32 v10, 0x3e9e377a, v47
	v_dual_fmac_f32 v32, 0x3e9e377a, v46 :: v_dual_fmac_f32 v33, 0x3e9e377a, v48
	v_dual_fmac_f32 v30, 0x3e9e377a, v46 :: v_dual_fmac_f32 v31, 0x3e9e377a, v48
	s_barrier_signal -1
	s_barrier_wait -1
	global_inv scope:SCOPE_SE
	v_dual_fmac_f32 v34, 0x3e9e377a, v45 :: v_dual_fmac_f32 v35, 0x3e9e377a, v47
	ds_store_2addr_b64 v19, v[11:12], v[5:6] offset1:10
	ds_store_2addr_b64 v19, v[7:8], v[52:53] offset0:20 offset1:30
	ds_store_b64 v19, v[3:4] offset:320
	ds_store_2addr_b64 v40, v[13:14], v[9:10] offset1:10
	ds_store_2addr_b64 v40, v[32:33], v[30:31] offset0:20 offset1:30
	ds_store_b64 v40, v[34:35] offset:320
	global_wb scope:SCOPE_SE
	s_wait_dscnt 0x0
	s_barrier_signal -1
	s_barrier_wait -1
	global_inv scope:SCOPE_SE
	ds_load_2addr_b64 v[8:11], v38 offset1:250
	ds_load_2addr_b64 v[16:19], v56 offset0:4 offset1:254
	ds_load_2addr_b64 v[12:15], v57 offset1:250
	ds_load_b64 v[36:37], v38 offset:12000
	v_add_nc_u32_e32 v40, v1, v2
                                        ; implicit-def: $vgpr3
                                        ; implicit-def: $vgpr7
	s_and_saveexec_b32 s1, s0
	s_cbranch_execz .LBB0_15
; %bb.14:
	v_add_nc_u32_e32 v1, 0x1cc0, v38
	v_add_nc_u32_e32 v4, 0x2c80, v38
	ds_load_b64 v[32:33], v40
	ds_load_b64 v[30:31], v38 offset:3400
	ds_load_2addr_b32 v[34:35], v0 offset0:70 offset1:71
	ds_load_2addr_b64 v[0:3], v1 offset0:5 offset1:255
	ds_load_2addr_b64 v[4:7], v4 offset0:1 offset1:251
.LBB0_15:
	s_wait_alu 0xfffe
	s_or_b32 exec_lo, exec_lo, s1
	v_mul_lo_u16 v43, v43, 41
	v_sub_nc_u32_e32 v41, 0, v41
	v_sub_nc_u32_e32 v42, 0, v42
	s_delay_alu instid0(VALU_DEP_3) | instskip(NEXT) | instid1(VALU_DEP_1)
	v_lshrrev_b16 v55, 11, v43
	v_mul_lo_u16 v43, v55, 50
	s_delay_alu instid0(VALU_DEP_1) | instskip(NEXT) | instid1(VALU_DEP_1)
	v_sub_nc_u16 v43, v22, v43
	v_and_b32_e32 v56, 0xff, v43
	s_delay_alu instid0(VALU_DEP_1) | instskip(NEXT) | instid1(VALU_DEP_1)
	v_mul_u32_u24_e32 v43, 6, v56
	v_lshlrev_b32_e32 v51, 3, v43
	s_clause 0x2
	global_load_b128 v[43:46], v51, s[8:9] offset:384
	global_load_b128 v[47:50], v51, s[8:9] offset:400
	;; [unrolled: 1-line block ×3, first 2 shown]
	v_and_b32_e32 v55, 0xffff, v55
	global_wb scope:SCOPE_SE
	s_wait_loadcnt_dscnt 0x0
	s_barrier_signal -1
	s_barrier_wait -1
	global_inv scope:SCOPE_SE
	v_mul_f32_e32 v57, v46, v17
	v_mul_f32_e32 v46, v46, v16
	v_mul_u32_u24_e32 v55, 0xaf0, v55
	v_dual_mul_f32 v59, v50, v13 :: v_dual_lshlrev_b32 v56, 3, v56
	s_delay_alu instid0(VALU_DEP_4) | instskip(SKIP_1) | instid1(VALU_DEP_3)
	v_dual_mul_f32 v58, v48, v19 :: v_dual_fmac_f32 v57, v45, v16
	v_mul_f32_e32 v48, v48, v18
	v_add3_u32 v55, 0, v55, v56
	s_delay_alu instid0(VALU_DEP_4) | instskip(SKIP_1) | instid1(VALU_DEP_4)
	v_dual_fmac_f32 v59, v49, v12 :: v_dual_mul_f32 v56, v44, v11
	v_dual_mul_f32 v61, v54, v37 :: v_dual_mul_f32 v44, v44, v10
	v_fma_f32 v16, v47, v19, -v48
	v_mul_f32_e32 v60, v52, v15
	s_delay_alu instid0(VALU_DEP_3) | instskip(NEXT) | instid1(VALU_DEP_4)
	v_dual_fmac_f32 v56, v43, v10 :: v_dual_fmac_f32 v61, v53, v36
	v_fma_f32 v10, v43, v11, -v44
	v_fma_f32 v11, v45, v17, -v46
	v_mul_f32_e32 v54, v54, v36
	v_mul_f32_e32 v50, v50, v12
	v_fmac_f32_e32 v60, v51, v14
	s_delay_alu instid0(VALU_DEP_3) | instskip(NEXT) | instid1(VALU_DEP_1)
	v_fma_f32 v12, v53, v37, -v54
	v_dual_mul_f32 v52, v52, v14 :: v_dual_add_f32 v17, v10, v12
	s_delay_alu instid0(VALU_DEP_1) | instskip(SKIP_3) | instid1(VALU_DEP_4)
	v_fma_f32 v14, v51, v15, -v52
	v_add_f32_e32 v15, v56, v61
	v_fma_f32 v13, v49, v13, -v50
	v_fmac_f32_e32 v58, v47, v18
	v_add_f32_e32 v19, v11, v14
	v_sub_f32_e32 v11, v11, v14
	s_delay_alu instid0(VALU_DEP_4)
	v_add_f32_e32 v37, v16, v13
	v_dual_sub_f32 v13, v13, v16 :: v_dual_sub_f32 v18, v56, v61
	v_dual_sub_f32 v10, v10, v12 :: v_dual_sub_f32 v43, v59, v58
	v_add_f32_e32 v14, v58, v59
	v_add_f32_e32 v44, v19, v17
	v_sub_f32_e32 v46, v19, v17
	v_sub_f32_e32 v17, v17, v37
	v_add_f32_e32 v12, v57, v60
	v_sub_f32_e32 v50, v13, v11
	v_sub_f32_e32 v19, v37, v19
	s_delay_alu instid0(VALU_DEP_4) | instskip(NEXT) | instid1(VALU_DEP_4)
	v_mul_f32_e32 v17, 0x3f4a47b2, v17
	v_dual_sub_f32 v45, v12, v15 :: v_dual_sub_f32 v36, v57, v60
	v_dual_add_f32 v16, v12, v15 :: v_dual_sub_f32 v15, v15, v14
	v_sub_f32_e32 v12, v14, v12
	s_delay_alu instid0(VALU_DEP_3) | instskip(SKIP_1) | instid1(VALU_DEP_4)
	v_dual_add_f32 v48, v13, v11 :: v_dual_sub_f32 v49, v43, v36
	v_add_f32_e32 v47, v43, v36
	v_dual_add_f32 v14, v14, v16 :: v_dual_mul_f32 v15, 0x3f4a47b2, v15
	v_sub_f32_e32 v43, v18, v43
	v_dual_sub_f32 v13, v10, v13 :: v_dual_sub_f32 v36, v36, v18
	v_dual_sub_f32 v11, v11, v10 :: v_dual_add_f32 v16, v37, v44
	v_dual_add_f32 v18, v47, v18 :: v_dual_mul_f32 v37, 0x3d64c772, v12
	v_dual_add_f32 v10, v48, v10 :: v_dual_mul_f32 v47, 0x3f08b237, v49
	s_delay_alu instid0(VALU_DEP_4)
	v_mul_f32_e32 v49, 0xbf5ff5aa, v36
	v_add_f32_e32 v8, v14, v8
	v_fmamk_f32 v12, v12, 0x3d64c772, v15
	v_mul_f32_e32 v48, 0x3f08b237, v50
	v_dual_mul_f32 v44, 0x3d64c772, v19 :: v_dual_fmamk_f32 v19, v19, 0x3d64c772, v17
	v_add_f32_e32 v9, v16, v9
	v_fma_f32 v37, 0x3f3bfb3b, v45, -v37
	v_fma_f32 v15, 0xbf3bfb3b, v45, -v15
	;; [unrolled: 1-line block ×3, first 2 shown]
	v_mul_f32_e32 v50, 0xbf5ff5aa, v11
	v_fmamk_f32 v45, v43, 0xbeae86e6, v47
	v_fma_f32 v36, 0xbf5ff5aa, v36, -v47
	v_fma_f32 v47, 0xbf5ff5aa, v11, -v48
	v_fmamk_f32 v11, v14, 0xbf955555, v8
	v_fma_f32 v44, 0x3f3bfb3b, v46, -v44
	v_fma_f32 v43, 0x3eae86e6, v43, -v49
	s_delay_alu instid0(VALU_DEP_3) | instskip(SKIP_2) | instid1(VALU_DEP_1)
	v_dual_add_f32 v49, v12, v11 :: v_dual_fmamk_f32 v46, v13, 0xbeae86e6, v48
	v_fma_f32 v48, 0x3eae86e6, v13, -v50
	v_fmamk_f32 v13, v16, 0xbf955555, v9
	v_add_f32_e32 v50, v19, v13
	v_dual_add_f32 v16, v37, v11 :: v_dual_fmac_f32 v43, 0xbee1c552, v18
	v_add_f32_e32 v19, v17, v13
	v_dual_add_f32 v17, v44, v13 :: v_dual_fmac_f32 v46, 0xbee1c552, v10
	v_fmac_f32_e32 v45, 0xbee1c552, v18
	s_delay_alu instid0(VALU_DEP_3) | instskip(NEXT) | instid1(VALU_DEP_3)
	v_dual_fmac_f32 v48, 0xbee1c552, v10 :: v_dual_sub_f32 v13, v19, v43
	v_dual_fmac_f32 v47, 0xbee1c552, v10 :: v_dual_add_f32 v10, v46, v49
	s_delay_alu instid0(VALU_DEP_1) | instskip(SKIP_3) | instid1(VALU_DEP_3)
	v_sub_f32_e32 v14, v16, v47
	v_dual_fmac_f32 v36, 0xbee1c552, v18 :: v_dual_add_f32 v19, v43, v19
	v_dual_add_f32 v18, v15, v11 :: v_dual_sub_f32 v11, v50, v45
	v_dual_add_f32 v16, v47, v16 :: v_dual_add_f32 v37, v45, v50
	v_add_f32_e32 v15, v36, v17
	s_delay_alu instid0(VALU_DEP_3)
	v_dual_add_f32 v12, v48, v18 :: v_dual_sub_f32 v17, v17, v36
	v_sub_f32_e32 v18, v18, v48
	v_sub_f32_e32 v36, v49, v46
	ds_store_2addr_b64 v55, v[8:9], v[10:11] offset1:50
	ds_store_2addr_b64 v55, v[12:13], v[14:15] offset0:100 offset1:150
	ds_store_2addr_b64 v55, v[16:17], v[18:19] offset0:200 offset1:250
	ds_store_b64 v55, v[36:37] offset:2400
	s_and_saveexec_b32 s1, s0
	s_cbranch_execz .LBB0_17
; %bb.16:
	v_lshrrev_b16 v8, 1, v26
	s_delay_alu instid0(VALU_DEP_1) | instskip(NEXT) | instid1(VALU_DEP_1)
	v_and_b32_e32 v8, 0xffff, v8
	v_mul_u32_u24_e32 v8, 0x147b, v8
	s_delay_alu instid0(VALU_DEP_1) | instskip(NEXT) | instid1(VALU_DEP_1)
	v_lshrrev_b32_e32 v8, 17, v8
	v_mul_lo_u16 v8, v8, 50
	s_delay_alu instid0(VALU_DEP_1) | instskip(NEXT) | instid1(VALU_DEP_1)
	v_sub_nc_u16 v8, v26, v8
	v_and_b32_e32 v36, 0xffff, v8
	s_delay_alu instid0(VALU_DEP_1) | instskip(NEXT) | instid1(VALU_DEP_1)
	v_mul_u32_u24_e32 v8, 6, v36
	v_lshlrev_b32_e32 v16, 3, v8
	s_clause 0x2
	global_load_b128 v[8:11], v16, s[8:9] offset:384
	global_load_b128 v[12:15], v16, s[8:9] offset:416
	;; [unrolled: 1-line block ×3, first 2 shown]
	s_wait_loadcnt 0x2
	v_dual_mul_f32 v46, v35, v11 :: v_dual_and_b32 v37, 0xff, v26
	s_wait_loadcnt 0x1
	v_mul_f32_e32 v43, v7, v15
	s_wait_loadcnt 0x0
	v_mul_f32_e32 v44, v3, v19
	v_mul_lo_u16 v37, v37, 41
	v_dual_mul_f32 v47, v5, v13 :: v_dual_lshlrev_b32 v36, 3, v36
	v_mul_f32_e32 v45, v1, v17
	s_delay_alu instid0(VALU_DEP_4) | instskip(NEXT) | instid1(VALU_DEP_4)
	v_dual_mul_f32 v17, v0, v17 :: v_dual_fmac_f32 v44, v2, v18
	v_lshrrev_b16 v37, 11, v37
	v_dual_mul_f32 v13, v4, v13 :: v_dual_fmac_f32 v46, v34, v10
	s_delay_alu instid0(VALU_DEP_3) | instskip(NEXT) | instid1(VALU_DEP_3)
	v_fma_f32 v1, v1, v16, -v17
	v_and_b32_e32 v37, 0xffff, v37
	s_delay_alu instid0(VALU_DEP_1) | instskip(NEXT) | instid1(VALU_DEP_1)
	v_mul_u32_u24_e32 v37, 0xaf0, v37
	v_add3_u32 v36, 0, v37, v36
	v_mul_f32_e32 v37, v31, v9
	s_delay_alu instid0(VALU_DEP_1) | instskip(SKIP_3) | instid1(VALU_DEP_2)
	v_fmac_f32_e32 v37, v30, v8
	v_fmac_f32_e32 v47, v4, v12
	;; [unrolled: 1-line block ×3, first 2 shown]
	v_fma_f32 v4, v5, v12, -v13
	v_add_f32_e32 v13, v45, v44
	v_mul_f32_e32 v11, v34, v11
	s_delay_alu instid0(VALU_DEP_1) | instskip(SKIP_1) | instid1(VALU_DEP_2)
	v_fma_f32 v5, v35, v10, -v11
	v_mul_f32_e32 v15, v6, v15
	v_add_f32_e32 v11, v5, v4
	v_fmac_f32_e32 v43, v6, v14
	v_mul_f32_e32 v9, v30, v9
	s_delay_alu instid0(VALU_DEP_4)
	v_fma_f32 v0, v7, v14, -v15
	v_sub_f32_e32 v7, v44, v45
	v_mul_f32_e32 v19, v2, v19
	v_sub_f32_e32 v6, v37, v43
	v_fma_f32 v2, v31, v8, -v9
	v_sub_f32_e32 v8, v46, v47
	s_delay_alu instid0(VALU_DEP_2) | instskip(SKIP_2) | instid1(VALU_DEP_4)
	v_add_f32_e32 v9, v2, v0
	v_sub_f32_e32 v0, v2, v0
	v_sub_f32_e32 v2, v5, v4
	;; [unrolled: 1-line block ×3, first 2 shown]
	v_fma_f32 v3, v3, v18, -v19
	s_delay_alu instid0(VALU_DEP_2) | instskip(NEXT) | instid1(VALU_DEP_2)
	v_mul_f32_e32 v4, 0x3f08b237, v4
	v_dual_add_f32 v10, v1, v3 :: v_dual_sub_f32 v1, v3, v1
	s_delay_alu instid0(VALU_DEP_1)
	v_sub_f32_e32 v30, v0, v1
	v_add_f32_e32 v16, v11, v9
	v_add_f32_e32 v12, v37, v43
	v_add_f32_e32 v14, v46, v47
	v_sub_f32_e32 v3, v6, v7
	v_add_f32_e32 v5, v7, v8
	v_sub_f32_e32 v7, v9, v10
	v_sub_f32_e32 v31, v1, v2
	v_add_f32_e32 v1, v1, v2
	v_sub_f32_e32 v8, v8, v6
	v_dual_sub_f32 v2, v2, v0 :: v_dual_add_f32 v5, v5, v6
	v_dual_mul_f32 v6, 0x3f4a47b2, v7 :: v_dual_sub_f32 v17, v12, v13
	v_dual_fmamk_f32 v34, v3, 0xbeae86e6, v4 :: v_dual_add_f32 v19, v14, v12
	v_dual_sub_f32 v18, v13, v14 :: v_dual_sub_f32 v15, v10, v11
	v_add_f32_e32 v10, v10, v16
	v_dual_mul_f32 v16, 0x3f08b237, v31 :: v_dual_sub_f32 v9, v11, v9
	s_delay_alu instid0(VALU_DEP_4) | instskip(SKIP_2) | instid1(VALU_DEP_2)
	v_add_f32_e32 v13, v13, v19
	v_dual_sub_f32 v11, v14, v12 :: v_dual_mul_f32 v12, 0x3f4a47b2, v17
	v_dual_mul_f32 v14, 0x3d64c772, v18 :: v_dual_mul_f32 v7, 0x3d64c772, v15
	v_fmamk_f32 v18, v18, 0x3d64c772, v12
	v_mul_f32_e32 v19, 0xbf5ff5aa, v8
	v_fma_f32 v8, 0xbf5ff5aa, v8, -v4
	v_dual_add_f32 v17, v1, v0 :: v_dual_add_f32 v0, v32, v13
	v_fmamk_f32 v32, v30, 0xbeae86e6, v16
	s_delay_alu instid0(VALU_DEP_4)
	v_fma_f32 v19, 0x3eae86e6, v3, -v19
	v_fma_f32 v3, 0xbf3bfb3b, v9, -v6
	;; [unrolled: 1-line block ×4, first 2 shown]
	v_fmac_f32_e32 v32, 0xbee1c552, v17
	v_dual_fmac_f32 v8, 0xbee1c552, v5 :: v_dual_add_f32 v1, v33, v10
	v_fmac_f32_e32 v34, 0xbee1c552, v5
	s_delay_alu instid0(VALU_DEP_2) | instskip(SKIP_2) | instid1(VALU_DEP_3)
	v_dual_fmamk_f32 v9, v10, 0xbf955555, v1 :: v_dual_fmamk_f32 v10, v13, 0xbf955555, v0
	v_fmamk_f32 v15, v15, 0x3d64c772, v6
	v_fma_f32 v6, 0xbf3bfb3b, v11, -v12
	v_dual_add_f32 v14, v18, v10 :: v_dual_add_f32 v11, v3, v9
	s_delay_alu instid0(VALU_DEP_2) | instskip(NEXT) | instid1(VALU_DEP_4)
	v_add_f32_e32 v6, v6, v10
	v_dual_add_f32 v12, v15, v9 :: v_dual_add_f32 v15, v4, v10
	v_mul_f32_e32 v31, 0xbf5ff5aa, v2
	v_fma_f32 v2, 0xbf5ff5aa, v2, -v16
	s_delay_alu instid0(VALU_DEP_3) | instskip(SKIP_1) | instid1(VALU_DEP_4)
	v_add_f32_e32 v3, v34, v12
	v_sub_f32_e32 v13, v12, v34
	v_fma_f32 v30, 0x3eae86e6, v30, -v31
	s_delay_alu instid0(VALU_DEP_4) | instskip(SKIP_1) | instid1(VALU_DEP_3)
	v_fmac_f32_e32 v2, 0xbee1c552, v17
	v_add_f32_e32 v12, v32, v14
	v_fmac_f32_e32 v30, 0xbee1c552, v17
	v_fmac_f32_e32 v19, 0xbee1c552, v5
	s_delay_alu instid0(VALU_DEP_2) | instskip(NEXT) | instid1(VALU_DEP_2)
	v_dual_add_f32 v9, v7, v9 :: v_dual_add_f32 v10, v30, v6
	v_dual_sub_f32 v4, v6, v30 :: v_dual_add_f32 v5, v19, v11
	s_delay_alu instid0(VALU_DEP_2)
	v_sub_f32_e32 v7, v9, v8
	v_dual_add_f32 v9, v8, v9 :: v_dual_sub_f32 v8, v15, v2
	v_sub_f32_e32 v11, v11, v19
	v_add_f32_e32 v6, v2, v15
	v_sub_f32_e32 v2, v14, v32
	ds_store_2addr_b64 v36, v[0:1], v[12:13] offset1:50
	ds_store_2addr_b64 v36, v[10:11], v[8:9] offset0:100 offset1:150
	ds_store_2addr_b64 v36, v[6:7], v[4:5] offset0:200 offset1:250
	ds_store_b64 v36, v[2:3] offset:2400
.LBB0_17:
	s_wait_alu 0xfffe
	s_or_b32 exec_lo, exec_lo, s1
	v_dual_mov_b32 v1, 0 :: v_dual_lshlrev_b32 v0, 2, v22
	global_wb scope:SCOPE_SE
	s_wait_dscnt 0x0
	s_barrier_signal -1
	s_barrier_wait -1
	global_inv scope:SCOPE_SE
	v_lshlrev_b64_e32 v[2:3], 3, v[0:1]
	s_mov_b32 s1, exec_lo
	s_delay_alu instid0(VALU_DEP_1) | instskip(SKIP_1) | instid1(VALU_DEP_2)
	v_add_co_u32 v6, s0, s8, v2
	s_wait_alu 0xf1ff
	v_add_co_ci_u32_e64 v7, s0, s9, v3, s0
	s_clause 0x1
	global_load_b128 v[2:5], v[6:7], off offset:2784
	global_load_b128 v[8:11], v[6:7], off offset:2800
	v_lshlrev_b32_e32 v0, 2, v26
	s_delay_alu instid0(VALU_DEP_1) | instskip(SKIP_1) | instid1(VALU_DEP_2)
	v_lshlrev_b64_e32 v[12:13], 3, v[0:1]
	v_add_nc_u32_e32 v0, 0x1a00, v38
	v_add_co_u32 v6, s0, s8, v12
	s_wait_alu 0xf1ff
	s_delay_alu instid0(VALU_DEP_3)
	v_add_co_ci_u32_e64 v7, s0, s9, v13, s0
	s_clause 0x1
	global_load_b128 v[12:15], v[6:7], off offset:2784
	global_load_b128 v[16:19], v[6:7], off offset:2800
	v_add_nc_u32_e32 v7, v27, v41
	v_add_nc_u32_e32 v6, v39, v42
	ds_load_b64 v[41:42], v7
	v_add_nc_u32_e32 v27, 0x2400, v38
	ds_load_b64 v[43:44], v6
	ds_load_2addr_b64 v[30:33], v0 offset0:43 offset1:218
	ds_load_2addr_b64 v[34:37], v27 offset0:73 offset1:248
	ds_load_b64 v[45:46], v40
	ds_load_b64 v[47:48], v38
	ds_load_b64 v[49:50], v38 offset:4200
	ds_load_b64 v[51:52], v38 offset:12600
	global_wb scope:SCOPE_SE
	s_wait_loadcnt_dscnt 0x0
	s_barrier_signal -1
	s_barrier_wait -1
	global_inv scope:SCOPE_SE
	v_dual_mul_f32 v0, v3, v42 :: v_dual_mul_f32 v39, v9, v33
	v_mul_f32_e32 v3, v3, v41
	v_mul_f32_e32 v27, v5, v44
	;; [unrolled: 1-line block ×5, first 2 shown]
	v_dual_mul_f32 v11, v11, v36 :: v_dual_fmac_f32 v0, v2, v41
	v_fma_f32 v2, v2, v42, -v3
	v_fma_f32 v3, v4, v44, -v5
	v_fmac_f32_e32 v39, v8, v32
	v_fmac_f32_e32 v53, v10, v36
	v_fma_f32 v32, v10, v37, -v11
	s_delay_alu instid0(VALU_DEP_4) | instskip(SKIP_4) | instid1(VALU_DEP_4)
	v_sub_f32_e32 v44, v3, v2
	v_mul_f32_e32 v10, v31, v15
	v_fma_f32 v5, v8, v33, -v9
	v_dual_fmac_f32 v27, v4, v43 :: v_dual_mul_f32 v4, v13, v50
	v_mul_f32_e32 v8, v13, v49
	v_fmac_f32_e32 v10, v30, v14
	s_delay_alu instid0(VALU_DEP_4)
	v_add_f32_e32 v36, v3, v5
	v_sub_f32_e32 v42, v32, v5
	v_dual_fmac_f32 v4, v12, v49 :: v_dual_mul_f32 v9, v30, v15
	v_add_f32_e32 v30, v0, v53
	v_mul_f32_e32 v11, v34, v17
	v_mul_f32_e32 v33, v52, v19
	;; [unrolled: 1-line block ×3, first 2 shown]
	v_fma_f32 v8, v12, v50, -v8
	v_fma_f32 v12, v31, v14, -v9
	v_sub_f32_e32 v14, v3, v5
	v_mul_f32_e32 v15, v35, v17
	v_fma_f32 v19, v52, v18, -v13
	v_sub_f32_e32 v13, v2, v32
	v_add_f32_e32 v50, v46, v8
	v_sub_f32_e32 v58, v12, v8
	v_dual_fmac_f32 v15, v34, v16 :: v_dual_sub_f32 v34, v39, v53
	v_add_f32_e32 v43, v2, v32
	v_dual_fmac_f32 v33, v51, v18 :: v_dual_sub_f32 v18, v53, v39
	v_fma_f32 v17, v35, v16, -v11
	v_sub_f32_e32 v41, v2, v3
	v_add_f32_e32 v11, v27, v39
	v_dual_sub_f32 v16, v0, v27 :: v_dual_add_f32 v9, v47, v0
	v_sub_f32_e32 v31, v27, v0
	v_add_f32_e32 v35, v48, v2
	v_dual_sub_f32 v49, v5, v32 :: v_dual_sub_f32 v54, v10, v15
	v_fma_f32 v2, -0.5, v11, v47
	v_dual_sub_f32 v37, v27, v39 :: v_dual_add_f32 v18, v16, v18
	v_add_f32_e32 v9, v9, v27
	v_fma_f32 v47, -0.5, v30, v47
	v_add_f32_e32 v27, v31, v34
	v_dual_add_f32 v31, v44, v49 :: v_dual_add_f32 v16, v45, v4
	v_add_f32_e32 v11, v35, v3
	v_fma_f32 v3, -0.5, v36, v48
	v_fmac_f32_e32 v48, -0.5, v43
	v_add_f32_e32 v34, v10, v15
	v_sub_f32_e32 v36, v12, v17
	v_dual_add_f32 v43, v4, v33 :: v_dual_sub_f32 v44, v10, v4
	v_sub_f32_e32 v52, v4, v33
	v_add_f32_e32 v30, v41, v42
	v_dual_sub_f32 v41, v4, v10 :: v_dual_sub_f32 v42, v33, v15
	v_dual_add_f32 v57, v8, v19 :: v_dual_fmamk_f32 v4, v13, 0xbf737871, v2
	v_fmac_f32_e32 v2, 0x3f737871, v13
	v_add_f32_e32 v51, v12, v17
	v_sub_f32_e32 v0, v0, v53
	v_dual_sub_f32 v35, v8, v19 :: v_dual_sub_f32 v56, v19, v17
	v_dual_sub_f32 v49, v15, v33 :: v_dual_add_f32 v16, v16, v10
	v_dual_sub_f32 v55, v8, v12 :: v_dual_add_f32 v60, v11, v5
	v_sub_f32_e32 v59, v17, v19
	v_dual_add_f32 v39, v9, v39 :: v_dual_fmamk_f32 v8, v14, 0x3f737871, v47
	v_fma_f32 v10, -0.5, v34, v45
	v_add_f32_e32 v34, v41, v42
	v_fma_f32 v45, -0.5, v43, v45
	v_dual_add_f32 v42, v50, v12 :: v_dual_fmac_f32 v47, 0xbf737871, v14
	v_fmamk_f32 v9, v37, 0xbf737871, v48
	v_fmac_f32_e32 v48, 0x3f737871, v37
	v_fma_f32 v11, -0.5, v51, v46
	v_dual_fmac_f32 v46, -0.5, v57 :: v_dual_fmamk_f32 v5, v0, 0x3f737871, v3
	v_dual_add_f32 v12, v39, v53 :: v_dual_fmac_f32 v3, 0xbf737871, v0
	v_dual_add_f32 v41, v44, v49 :: v_dual_fmac_f32 v4, 0xbf167918, v14
	;; [unrolled: 1-line block ×3, first 2 shown]
	v_add_f32_e32 v44, v58, v59
	v_fmac_f32_e32 v8, 0xbf167918, v13
	v_fmamk_f32 v14, v35, 0xbf737871, v10
	v_fmac_f32_e32 v10, 0x3f737871, v35
	v_fmac_f32_e32 v47, 0x3f167918, v13
	v_dual_add_f32 v13, v60, v32 :: v_dual_add_f32 v32, v42, v17
	v_fmac_f32_e32 v9, 0x3f167918, v0
	v_fmac_f32_e32 v48, 0xbf167918, v0
	v_add_f32_e32 v0, v16, v15
	v_fmamk_f32 v16, v36, 0x3f737871, v45
	v_add_f32_e32 v19, v32, v19
	v_fmac_f32_e32 v45, 0xbf737871, v36
	v_fmamk_f32 v15, v52, 0x3f737871, v11
	v_fmac_f32_e32 v11, 0xbf737871, v52
	v_fmamk_f32 v17, v54, 0xbf737871, v46
	v_fmac_f32_e32 v46, 0x3f737871, v54
	v_fmac_f32_e32 v5, 0x3f167918, v37
	v_dual_fmac_f32 v3, 0xbf167918, v37 :: v_dual_fmac_f32 v14, 0xbf167918, v36
	v_fmac_f32_e32 v10, 0x3f167918, v36
	v_dual_fmac_f32 v16, 0xbf167918, v35 :: v_dual_fmac_f32 v11, 0xbf167918, v54
	v_fmac_f32_e32 v45, 0x3f167918, v35
	v_fmac_f32_e32 v15, 0x3f167918, v54
	v_fmac_f32_e32 v17, 0x3f167918, v52
	v_fmac_f32_e32 v46, 0xbf167918, v52
	v_dual_fmac_f32 v4, 0x3e9e377a, v18 :: v_dual_fmac_f32 v47, 0x3e9e377a, v27
	v_dual_fmac_f32 v8, 0x3e9e377a, v27 :: v_dual_fmac_f32 v5, 0x3e9e377a, v30
	v_fmac_f32_e32 v2, 0x3e9e377a, v18
	v_dual_add_f32 v18, v0, v33 :: v_dual_fmac_f32 v9, 0x3e9e377a, v31
	v_dual_fmac_f32 v3, 0x3e9e377a, v30 :: v_dual_fmac_f32 v48, 0x3e9e377a, v31
	v_dual_fmac_f32 v14, 0x3e9e377a, v34 :: v_dual_fmac_f32 v45, 0x3e9e377a, v41
	;; [unrolled: 1-line block ×4, first 2 shown]
	v_fmac_f32_e32 v17, 0x3e9e377a, v44
	v_fmac_f32_e32 v46, 0x3e9e377a, v44
	ds_store_b64 v38, v[12:13]
	ds_store_b64 v38, v[4:5] offset:2800
	ds_store_b64 v38, v[8:9] offset:5600
	;; [unrolled: 1-line block ×4, first 2 shown]
	ds_store_b64 v40, v[18:19]
	ds_store_b64 v40, v[14:15] offset:2800
	ds_store_b64 v40, v[16:17] offset:5600
	;; [unrolled: 1-line block ×4, first 2 shown]
	global_wb scope:SCOPE_SE
	s_wait_dscnt 0x0
	s_barrier_signal -1
	s_barrier_wait -1
	global_inv scope:SCOPE_SE
	ds_load_b64 v[4:5], v38
	v_sub_nc_u32_e32 v8, 0, v23
                                        ; implicit-def: $vgpr0
                                        ; implicit-def: $vgpr9
                                        ; implicit-def: $vgpr10
                                        ; implicit-def: $vgpr2_vgpr3
	v_cmpx_ne_u32_e32 0, v22
	s_wait_alu 0xfffe
	s_xor_b32 s1, exec_lo, s1
	s_cbranch_execz .LBB0_19
; %bb.18:
	ds_load_b64 v[2:3], v8 offset:14000
	s_wait_dscnt 0x0
	v_dual_mov_b32 v23, v1 :: v_dual_add_f32 v10, v3, v5
	s_delay_alu instid0(VALU_DEP_1) | instskip(SKIP_2) | instid1(VALU_DEP_2)
	v_lshlrev_b64_e32 v[0:1], 3, v[22:23]
	v_dual_sub_f32 v9, v4, v2 :: v_dual_add_f32 v2, v2, v4
	v_sub_f32_e32 v3, v5, v3
	v_mul_f32_e32 v5, 0.5, v9
	s_delay_alu instid0(VALU_DEP_4)
	v_add_co_u32 v0, s0, s8, v0
	s_wait_alu 0xf1ff
	v_add_co_ci_u32_e64 v1, s0, s9, v1, s0
	v_mul_f32_e32 v3, 0.5, v3
	global_load_b64 v[0:1], v[0:1], off offset:13984
	s_wait_loadcnt 0x0
	v_dual_mul_f32 v11, 0.5, v10 :: v_dual_mul_f32 v4, v1, v5
	s_delay_alu instid0(VALU_DEP_1) | instskip(SKIP_1) | instid1(VALU_DEP_3)
	v_fma_f32 v10, v11, v1, v3
	v_fma_f32 v1, v11, v1, -v3
	v_fma_f32 v9, 0.5, v2, v4
	v_fma_f32 v2, v2, 0.5, -v4
	s_delay_alu instid0(VALU_DEP_4) | instskip(NEXT) | instid1(VALU_DEP_4)
	v_fma_f32 v10, -v0, v5, v10
	v_fma_f32 v1, -v0, v5, v1
                                        ; implicit-def: $vgpr4_vgpr5
	s_delay_alu instid0(VALU_DEP_4) | instskip(NEXT) | instid1(VALU_DEP_4)
	v_fmac_f32_e32 v9, v0, v11
	v_fma_f32 v0, -v0, v11, v2
	v_dual_mov_b32 v2, v22 :: v_dual_mov_b32 v3, v23
.LBB0_19:
	s_wait_alu 0xfffe
	s_and_not1_saveexec_b32 s0, s1
	s_cbranch_execz .LBB0_21
; %bb.20:
	s_wait_dscnt 0x0
	v_dual_mov_b32 v10, 0 :: v_dual_add_f32 v9, v4, v5
	v_mov_b32_e32 v2, 0
	v_dual_sub_f32 v0, v4, v5 :: v_dual_mov_b32 v3, 0
	ds_load_b32 v1, v10 offset:7004
	s_wait_dscnt 0x0
	v_xor_b32_e32 v4, 0x80000000, v1
	v_mov_b32_e32 v1, 0
	ds_store_b32 v10, v4 offset:7004
.LBB0_21:
	s_wait_alu 0xfffe
	s_or_b32 exec_lo, exec_lo, s0
	v_mov_b32_e32 v27, 0
	v_lshlrev_b64_e32 v[2:3], 3, v[2:3]
	s_wait_dscnt 0x0
	s_delay_alu instid0(VALU_DEP_2) | instskip(SKIP_1) | instid1(VALU_DEP_1)
	v_lshlrev_b64_e32 v[4:5], 3, v[26:27]
	v_mov_b32_e32 v30, v27
	v_lshlrev_b64_e32 v[11:12], 3, v[29:30]
	v_mov_b32_e32 v29, v27
	s_delay_alu instid0(VALU_DEP_4) | instskip(SKIP_2) | instid1(VALU_DEP_4)
	v_add_co_u32 v4, s0, s8, v4
	s_wait_alu 0xf1ff
	v_add_co_ci_u32_e64 v5, s0, s9, v5, s0
	v_add_co_u32 v11, s0, s8, v11
	s_wait_alu 0xf1ff
	v_add_co_ci_u32_e64 v12, s0, s9, v12, s0
	global_load_b64 v[4:5], v[4:5], off offset:13984
	v_lshlrev_b64_e32 v[13:14], 3, v[28:29]
	s_add_nc_u64 s[0:1], s[8:9], 0x36a0
	global_load_b64 v[11:12], v[11:12], off offset:13984
	s_wait_alu 0xfffe
	v_add_co_u32 v2, s0, s0, v2
	s_wait_alu 0xf1ff
	v_add_co_ci_u32_e64 v3, s0, s1, v3, s0
	v_add_co_u32 v13, s0, s8, v13
	s_wait_alu 0xf1ff
	v_add_co_ci_u32_e64 v14, s0, s9, v14, s0
	s_clause 0x1
	global_load_b64 v[13:14], v[13:14], off offset:13984
	global_load_b64 v[2:3], v[2:3], off offset:4200
	ds_store_2addr_b32 v38, v9, v10 offset1:1
	ds_store_b64 v8, v[0:1] offset:14000
	ds_load_b64 v[0:1], v40
	ds_load_b64 v[9:10], v8 offset:12600
	s_wait_dscnt 0x0
	v_dual_sub_f32 v15, v0, v9 :: v_dual_add_f32 v16, v1, v10
	v_dual_sub_f32 v1, v1, v10 :: v_dual_add_f32 v0, v0, v9
	s_delay_alu instid0(VALU_DEP_2) | instskip(NEXT) | instid1(VALU_DEP_2)
	v_dual_mul_f32 v10, 0.5, v15 :: v_dual_mul_f32 v15, 0.5, v16
	v_mul_f32_e32 v1, 0.5, v1
	s_wait_loadcnt 0x3
	s_delay_alu instid0(VALU_DEP_2) | instskip(NEXT) | instid1(VALU_DEP_2)
	v_mul_f32_e32 v9, v5, v10
	v_fma_f32 v16, v15, v5, v1
	v_fma_f32 v1, v15, v5, -v1
	s_delay_alu instid0(VALU_DEP_3) | instskip(SKIP_1) | instid1(VALU_DEP_4)
	v_fma_f32 v5, 0.5, v0, v9
	v_fma_f32 v0, v0, 0.5, -v9
	v_fma_f32 v9, -v4, v10, v16
	s_delay_alu instid0(VALU_DEP_4) | instskip(NEXT) | instid1(VALU_DEP_4)
	v_fma_f32 v1, -v4, v10, v1
	v_fmac_f32_e32 v5, v4, v15
	s_delay_alu instid0(VALU_DEP_4)
	v_fma_f32 v0, -v4, v15, v0
	ds_store_b32 v40, v9 offset:4
	ds_store_b32 v8, v1 offset:12604
	ds_store_b32 v40, v5
	ds_store_b32 v8, v0 offset:12600
	ds_load_b64 v[0:1], v7
	ds_load_b64 v[4:5], v8 offset:11200
	s_wait_dscnt 0x0
	v_dual_sub_f32 v9, v0, v4 :: v_dual_add_f32 v10, v1, v5
	v_dual_sub_f32 v1, v1, v5 :: v_dual_add_f32 v0, v0, v4
	s_delay_alu instid0(VALU_DEP_2) | instskip(NEXT) | instid1(VALU_DEP_3)
	v_mul_f32_e32 v5, 0.5, v9
	v_mul_f32_e32 v9, 0.5, v10
	s_delay_alu instid0(VALU_DEP_3) | instskip(SKIP_1) | instid1(VALU_DEP_3)
	v_mul_f32_e32 v1, 0.5, v1
	s_wait_loadcnt 0x2
	v_mul_f32_e32 v4, v12, v5
	s_delay_alu instid0(VALU_DEP_2) | instskip(SKIP_1) | instid1(VALU_DEP_3)
	v_fma_f32 v10, v9, v12, v1
	v_fma_f32 v1, v9, v12, -v1
	v_fma_f32 v12, 0.5, v0, v4
	v_fma_f32 v0, v0, 0.5, -v4
	s_delay_alu instid0(VALU_DEP_4) | instskip(NEXT) | instid1(VALU_DEP_4)
	v_fma_f32 v4, -v11, v5, v10
	v_fma_f32 v1, -v11, v5, v1
	s_delay_alu instid0(VALU_DEP_4) | instskip(NEXT) | instid1(VALU_DEP_4)
	v_fmac_f32_e32 v12, v11, v9
	v_fma_f32 v0, -v11, v9, v0
	ds_store_b32 v7, v4 offset:4
	ds_store_b32 v8, v1 offset:11204
	ds_store_b32 v7, v12
	ds_store_b32 v8, v0 offset:11200
	ds_load_b64 v[0:1], v38 offset:4200
	ds_load_b64 v[4:5], v8 offset:9800
	s_wait_dscnt 0x0
	v_sub_f32_e32 v7, v0, v4
	v_add_f32_e32 v9, v1, v5
	v_dual_sub_f32 v1, v1, v5 :: v_dual_add_f32 v0, v0, v4
	s_delay_alu instid0(VALU_DEP_3) | instskip(NEXT) | instid1(VALU_DEP_3)
	v_mul_f32_e32 v5, 0.5, v7
	v_mul_f32_e32 v7, 0.5, v9
	s_delay_alu instid0(VALU_DEP_3) | instskip(SKIP_1) | instid1(VALU_DEP_3)
	v_mul_f32_e32 v1, 0.5, v1
	s_wait_loadcnt 0x0
	v_mul_f32_e32 v4, v3, v5
	s_delay_alu instid0(VALU_DEP_2) | instskip(SKIP_1) | instid1(VALU_DEP_3)
	v_fma_f32 v9, v7, v3, v1
	v_fma_f32 v1, v7, v3, -v1
	v_fma_f32 v3, 0.5, v0, v4
	v_fma_f32 v0, v0, 0.5, -v4
	v_add_nc_u32_e32 v4, 0x1000, v38
	v_fma_f32 v9, -v2, v5, v9
	v_fma_f32 v1, -v2, v5, v1
	v_fmac_f32_e32 v3, v2, v7
	v_fma_f32 v0, -v2, v7, v0
	ds_store_2addr_b32 v4, v3, v9 offset0:26 offset1:27
	ds_store_b64 v8, v[0:1] offset:9800
	ds_load_b64 v[0:1], v6
	ds_load_b64 v[2:3], v8 offset:8400
	s_wait_dscnt 0x0
	v_dual_sub_f32 v4, v0, v2 :: v_dual_add_f32 v5, v1, v3
	v_dual_sub_f32 v1, v1, v3 :: v_dual_add_f32 v0, v0, v2
	s_delay_alu instid0(VALU_DEP_2) | instskip(NEXT) | instid1(VALU_DEP_1)
	v_dual_mul_f32 v3, 0.5, v4 :: v_dual_mul_f32 v4, 0.5, v5
	v_dual_mul_f32 v1, 0.5, v1 :: v_dual_mul_f32 v2, v14, v3
	s_delay_alu instid0(VALU_DEP_1) | instskip(SKIP_1) | instid1(VALU_DEP_3)
	v_fma_f32 v5, v4, v14, v1
	v_fma_f32 v1, v4, v14, -v1
	v_fma_f32 v7, 0.5, v0, v2
	v_fma_f32 v0, v0, 0.5, -v2
	s_delay_alu instid0(VALU_DEP_4) | instskip(NEXT) | instid1(VALU_DEP_4)
	v_fma_f32 v2, -v13, v3, v5
	v_fma_f32 v1, -v13, v3, v1
	s_delay_alu instid0(VALU_DEP_4) | instskip(NEXT) | instid1(VALU_DEP_4)
	v_fmac_f32_e32 v7, v13, v4
	v_fma_f32 v0, -v13, v4, v0
	ds_store_b32 v6, v2 offset:4
	ds_store_b32 v8, v1 offset:8404
	ds_store_b32 v6, v7
	ds_store_b32 v8, v0 offset:8400
	global_wb scope:SCOPE_SE
	s_wait_dscnt 0x0
	s_barrier_signal -1
	s_barrier_wait -1
	global_inv scope:SCOPE_SE
	s_and_saveexec_b32 s0, vcc_lo
	s_cbranch_execz .LBB0_24
; %bb.22:
	v_mul_lo_u32 v2, s3, v24
	v_mul_lo_u32 v3, s2, v25
	v_mad_co_u64_u32 v[0:1], null, s2, v24, 0
	v_lshl_add_u32 v24, v22, 3, 0
	v_dual_mov_b32 v23, v27 :: v_dual_add_nc_u32 v26, 0xaf, v22
	v_lshlrev_b64_e32 v[10:11], 3, v[20:21]
	s_delay_alu instid0(VALU_DEP_3) | instskip(SKIP_1) | instid1(VALU_DEP_4)
	v_add_nc_u32_e32 v6, 0xa00, v24
	v_add3_u32 v1, v1, v3, v2
	v_lshlrev_b64_e32 v[12:13], 3, v[22:23]
	ds_load_2addr_b64 v[2:5], v24 offset1:175
	v_lshlrev_b64_e32 v[14:15], 3, v[26:27]
	v_add_nc_u32_e32 v26, 0x15e, v22
	v_lshlrev_b64_e32 v[0:1], 3, v[0:1]
	ds_load_2addr_b64 v[6:9], v6 offset0:30 offset1:205
	v_add_nc_u32_e32 v20, 0x1400, v24
	v_lshlrev_b64_e32 v[16:17], 3, v[26:27]
	v_add_nc_u32_e32 v26, 0x20d, v22
	v_add_co_u32 v0, vcc_lo, s6, v0
	s_wait_alu 0xfffd
	v_add_co_ci_u32_e32 v1, vcc_lo, s7, v1, vcc_lo
	s_delay_alu instid0(VALU_DEP_2) | instskip(SKIP_1) | instid1(VALU_DEP_2)
	v_add_co_u32 v0, vcc_lo, v0, v10
	s_wait_alu 0xfffd
	v_add_co_ci_u32_e32 v1, vcc_lo, v1, v11, vcc_lo
	s_delay_alu instid0(VALU_DEP_2) | instskip(SKIP_1) | instid1(VALU_DEP_2)
	v_add_co_u32 v10, vcc_lo, v0, v12
	s_wait_alu 0xfffd
	v_add_co_ci_u32_e32 v11, vcc_lo, v1, v13, vcc_lo
	v_add_co_u32 v12, vcc_lo, v0, v14
	s_wait_alu 0xfffd
	v_add_co_ci_u32_e32 v13, vcc_lo, v1, v15, vcc_lo
	v_lshlrev_b64_e32 v[14:15], 3, v[26:27]
	v_add_nc_u32_e32 v26, 0x2bc, v22
	v_add_co_u32 v16, vcc_lo, v0, v16
	s_wait_alu 0xfffd
	v_add_co_ci_u32_e32 v17, vcc_lo, v1, v17, vcc_lo
	s_delay_alu instid0(VALU_DEP_3)
	v_lshlrev_b64_e32 v[18:19], 3, v[26:27]
	v_add_nc_u32_e32 v26, 0x36b, v22
	v_add_co_u32 v14, vcc_lo, v0, v14
	s_wait_alu 0xfffd
	v_add_co_ci_u32_e32 v15, vcc_lo, v1, v15, vcc_lo
	s_wait_dscnt 0x1
	s_clause 0x1
	global_store_b64 v[10:11], v[2:3], off
	global_store_b64 v[12:13], v[4:5], off
	s_wait_dscnt 0x0
	s_clause 0x1
	global_store_b64 v[16:17], v[6:7], off
	global_store_b64 v[14:15], v[8:9], off
	v_lshlrev_b64_e32 v[6:7], 3, v[26:27]
	v_add_nc_u32_e32 v26, 0x41a, v22
	v_add_co_u32 v14, vcc_lo, v0, v18
	s_wait_alu 0xfffd
	v_add_co_ci_u32_e32 v15, vcc_lo, v1, v19, vcc_lo
	s_delay_alu instid0(VALU_DEP_3) | instskip(SKIP_4) | instid1(VALU_DEP_4)
	v_lshlrev_b64_e32 v[10:11], 3, v[26:27]
	v_add_nc_u32_e32 v26, 0x4c9, v22
	v_add_nc_u32_e32 v8, 0x2000, v24
	v_add_co_u32 v16, vcc_lo, v0, v6
	v_add_nc_u32_e32 v12, 0x2a00, v24
	v_lshlrev_b64_e32 v[18:19], 3, v[26:27]
	v_add_nc_u32_e32 v26, 0x578, v22
	ds_load_2addr_b64 v[2:5], v20 offset0:60 offset1:235
	s_wait_alu 0xfffd
	v_add_co_ci_u32_e32 v17, vcc_lo, v1, v7, vcc_lo
	ds_load_2addr_b64 v[6:9], v8 offset0:26 offset1:201
	v_lshlrev_b64_e32 v[23:24], 3, v[26:27]
	v_add_nc_u32_e32 v26, 0x627, v22
	v_add_co_u32 v20, vcc_lo, v0, v10
	s_wait_alu 0xfffd
	v_add_co_ci_u32_e32 v21, vcc_lo, v1, v11, vcc_lo
	ds_load_2addr_b64 v[10:13], v12 offset0:56 offset1:231
	v_add_co_u32 v18, vcc_lo, v0, v18
	v_lshlrev_b64_e32 v[25:26], 3, v[26:27]
	s_wait_alu 0xfffd
	v_add_co_ci_u32_e32 v19, vcc_lo, v1, v19, vcc_lo
	v_add_co_u32 v23, vcc_lo, v0, v23
	s_wait_alu 0xfffd
	v_add_co_ci_u32_e32 v24, vcc_lo, v1, v24, vcc_lo
	v_add_co_u32 v25, vcc_lo, v0, v25
	s_wait_alu 0xfffd
	v_add_co_ci_u32_e32 v26, vcc_lo, v1, v26, vcc_lo
	v_cmp_eq_u32_e32 vcc_lo, 0xae, v22
	s_wait_dscnt 0x2
	s_clause 0x1
	global_store_b64 v[14:15], v[2:3], off
	global_store_b64 v[16:17], v[4:5], off
	s_wait_dscnt 0x1
	s_clause 0x1
	global_store_b64 v[20:21], v[6:7], off
	global_store_b64 v[18:19], v[8:9], off
	s_wait_dscnt 0x0
	s_clause 0x1
	global_store_b64 v[23:24], v[10:11], off
	global_store_b64 v[25:26], v[12:13], off
	s_and_b32 exec_lo, exec_lo, vcc_lo
	s_cbranch_execz .LBB0_24
; %bb.23:
	v_mov_b32_e32 v2, 0
	ds_load_b64 v[2:3], v2 offset:14000
	s_wait_dscnt 0x0
	global_store_b64 v[0:1], v[2:3], off offset:14000
.LBB0_24:
	s_nop 0
	s_sendmsg sendmsg(MSG_DEALLOC_VGPRS)
	s_endpgm
	.section	.rodata,"a",@progbits
	.p2align	6, 0x0
	.amdhsa_kernel fft_rtc_back_len1750_factors_2_5_5_7_5_wgs_175_tpt_175_halfLds_sp_op_CI_CI_unitstride_sbrr_R2C_dirReg
		.amdhsa_group_segment_fixed_size 0
		.amdhsa_private_segment_fixed_size 0
		.amdhsa_kernarg_size 104
		.amdhsa_user_sgpr_count 2
		.amdhsa_user_sgpr_dispatch_ptr 0
		.amdhsa_user_sgpr_queue_ptr 0
		.amdhsa_user_sgpr_kernarg_segment_ptr 1
		.amdhsa_user_sgpr_dispatch_id 0
		.amdhsa_user_sgpr_private_segment_size 0
		.amdhsa_wavefront_size32 1
		.amdhsa_uses_dynamic_stack 0
		.amdhsa_enable_private_segment 0
		.amdhsa_system_sgpr_workgroup_id_x 1
		.amdhsa_system_sgpr_workgroup_id_y 0
		.amdhsa_system_sgpr_workgroup_id_z 0
		.amdhsa_system_sgpr_workgroup_info 0
		.amdhsa_system_vgpr_workitem_id 0
		.amdhsa_next_free_vgpr 85
		.amdhsa_next_free_sgpr 39
		.amdhsa_reserve_vcc 1
		.amdhsa_float_round_mode_32 0
		.amdhsa_float_round_mode_16_64 0
		.amdhsa_float_denorm_mode_32 3
		.amdhsa_float_denorm_mode_16_64 3
		.amdhsa_fp16_overflow 0
		.amdhsa_workgroup_processor_mode 1
		.amdhsa_memory_ordered 1
		.amdhsa_forward_progress 0
		.amdhsa_round_robin_scheduling 0
		.amdhsa_exception_fp_ieee_invalid_op 0
		.amdhsa_exception_fp_denorm_src 0
		.amdhsa_exception_fp_ieee_div_zero 0
		.amdhsa_exception_fp_ieee_overflow 0
		.amdhsa_exception_fp_ieee_underflow 0
		.amdhsa_exception_fp_ieee_inexact 0
		.amdhsa_exception_int_div_zero 0
	.end_amdhsa_kernel
	.text
.Lfunc_end0:
	.size	fft_rtc_back_len1750_factors_2_5_5_7_5_wgs_175_tpt_175_halfLds_sp_op_CI_CI_unitstride_sbrr_R2C_dirReg, .Lfunc_end0-fft_rtc_back_len1750_factors_2_5_5_7_5_wgs_175_tpt_175_halfLds_sp_op_CI_CI_unitstride_sbrr_R2C_dirReg
                                        ; -- End function
	.section	.AMDGPU.csdata,"",@progbits
; Kernel info:
; codeLenInByte = 9436
; NumSgprs: 41
; NumVgprs: 85
; ScratchSize: 0
; MemoryBound: 0
; FloatMode: 240
; IeeeMode: 1
; LDSByteSize: 0 bytes/workgroup (compile time only)
; SGPRBlocks: 5
; VGPRBlocks: 10
; NumSGPRsForWavesPerEU: 41
; NumVGPRsForWavesPerEU: 85
; Occupancy: 15
; WaveLimiterHint : 1
; COMPUTE_PGM_RSRC2:SCRATCH_EN: 0
; COMPUTE_PGM_RSRC2:USER_SGPR: 2
; COMPUTE_PGM_RSRC2:TRAP_HANDLER: 0
; COMPUTE_PGM_RSRC2:TGID_X_EN: 1
; COMPUTE_PGM_RSRC2:TGID_Y_EN: 0
; COMPUTE_PGM_RSRC2:TGID_Z_EN: 0
; COMPUTE_PGM_RSRC2:TIDIG_COMP_CNT: 0
	.text
	.p2alignl 7, 3214868480
	.fill 96, 4, 3214868480
	.type	__hip_cuid_d570363ec867395f,@object ; @__hip_cuid_d570363ec867395f
	.section	.bss,"aw",@nobits
	.globl	__hip_cuid_d570363ec867395f
__hip_cuid_d570363ec867395f:
	.byte	0                               ; 0x0
	.size	__hip_cuid_d570363ec867395f, 1

	.ident	"AMD clang version 19.0.0git (https://github.com/RadeonOpenCompute/llvm-project roc-6.4.0 25133 c7fe45cf4b819c5991fe208aaa96edf142730f1d)"
	.section	".note.GNU-stack","",@progbits
	.addrsig
	.addrsig_sym __hip_cuid_d570363ec867395f
	.amdgpu_metadata
---
amdhsa.kernels:
  - .args:
      - .actual_access:  read_only
        .address_space:  global
        .offset:         0
        .size:           8
        .value_kind:     global_buffer
      - .offset:         8
        .size:           8
        .value_kind:     by_value
      - .actual_access:  read_only
        .address_space:  global
        .offset:         16
        .size:           8
        .value_kind:     global_buffer
      - .actual_access:  read_only
        .address_space:  global
        .offset:         24
        .size:           8
        .value_kind:     global_buffer
      - .actual_access:  read_only
        .address_space:  global
        .offset:         32
        .size:           8
        .value_kind:     global_buffer
      - .offset:         40
        .size:           8
        .value_kind:     by_value
      - .actual_access:  read_only
        .address_space:  global
        .offset:         48
        .size:           8
        .value_kind:     global_buffer
      - .actual_access:  read_only
        .address_space:  global
        .offset:         56
        .size:           8
        .value_kind:     global_buffer
      - .offset:         64
        .size:           4
        .value_kind:     by_value
      - .actual_access:  read_only
        .address_space:  global
        .offset:         72
        .size:           8
        .value_kind:     global_buffer
      - .actual_access:  read_only
        .address_space:  global
        .offset:         80
        .size:           8
        .value_kind:     global_buffer
      - .actual_access:  read_only
        .address_space:  global
        .offset:         88
        .size:           8
        .value_kind:     global_buffer
      - .actual_access:  write_only
        .address_space:  global
        .offset:         96
        .size:           8
        .value_kind:     global_buffer
    .group_segment_fixed_size: 0
    .kernarg_segment_align: 8
    .kernarg_segment_size: 104
    .language:       OpenCL C
    .language_version:
      - 2
      - 0
    .max_flat_workgroup_size: 175
    .name:           fft_rtc_back_len1750_factors_2_5_5_7_5_wgs_175_tpt_175_halfLds_sp_op_CI_CI_unitstride_sbrr_R2C_dirReg
    .private_segment_fixed_size: 0
    .sgpr_count:     41
    .sgpr_spill_count: 0
    .symbol:         fft_rtc_back_len1750_factors_2_5_5_7_5_wgs_175_tpt_175_halfLds_sp_op_CI_CI_unitstride_sbrr_R2C_dirReg.kd
    .uniform_work_group_size: 1
    .uses_dynamic_stack: false
    .vgpr_count:     85
    .vgpr_spill_count: 0
    .wavefront_size: 32
    .workgroup_processor_mode: 1
amdhsa.target:   amdgcn-amd-amdhsa--gfx1201
amdhsa.version:
  - 1
  - 2
...

	.end_amdgpu_metadata
